;; amdgpu-corpus repo=ROCm/rocFFT kind=compiled arch=gfx950 opt=O3
	.text
	.amdgcn_target "amdgcn-amd-amdhsa--gfx950"
	.amdhsa_code_object_version 6
	.protected	bluestein_single_fwd_len325_dim1_dp_op_CI_CI ; -- Begin function bluestein_single_fwd_len325_dim1_dp_op_CI_CI
	.globl	bluestein_single_fwd_len325_dim1_dp_op_CI_CI
	.p2align	8
	.type	bluestein_single_fwd_len325_dim1_dp_op_CI_CI,@function
bluestein_single_fwd_len325_dim1_dp_op_CI_CI: ; @bluestein_single_fwd_len325_dim1_dp_op_CI_CI
; %bb.0:
	s_load_dwordx4 s[12:15], s[0:1], 0x28
	v_mul_u32_u24_e32 v1, 0x13b2, v0
	v_lshrrev_b32_e32 v20, 16, v1
	v_mov_b32_e32 v185, 0
	v_lshl_add_u32 v6, s2, 2, v20
	v_mov_b32_e32 v7, v185
	s_waitcnt lgkmcnt(0)
	v_cmp_gt_u64_e32 vcc, s[12:13], v[6:7]
	s_and_saveexec_b64 s[2:3], vcc
	s_cbranch_execz .LBB0_15
; %bb.1:
	s_load_dwordx4 s[4:7], s[0:1], 0x18
	s_load_dwordx2 s[2:3], s[0:1], 0x0
	v_mul_lo_u16_e32 v1, 13, v20
	v_sub_u16_e32 v184, v0, v1
	v_accvgpr_write_b32 a4, v6
	s_waitcnt lgkmcnt(0)
	s_load_dwordx4 s[8:11], s[4:5], 0x0
	v_mov_b32_e32 v2, s14
	v_mov_b32_e32 v3, s15
	v_lshlrev_b32_e32 v16, 4, v184
	global_load_dwordx4 v[66:69], v16, s[2:3]
	s_waitcnt lgkmcnt(0)
	v_mad_u64_u32 v[0:1], s[4:5], s10, v6, 0
	v_mov_b32_e32 v4, v1
	v_mad_u64_u32 v[4:5], s[4:5], s11, v6, v[4:5]
	v_mov_b32_e32 v1, v4
	;; [unrolled: 2-line block ×3, first 2 shown]
	v_mad_u64_u32 v[6:7], s[4:5], s9, v184, v[6:7]
	s_mul_i32 s4, s9, 25
	s_mul_hi_u32 s5, s8, 25
	v_mov_b32_e32 v5, v6
	v_lshl_add_u64 v[40:41], v[0:1], 4, v[2:3]
	s_add_i32 s5, s5, s4
	s_mul_i32 s4, s8, 25
	v_lshl_add_u64 v[4:5], v[4:5], 4, v[40:41]
	s_lshl_b64 s[12:13], s[4:5], 4
	global_load_dwordx4 v[0:3], v[4:5], off
	v_lshl_add_u64 v[8:9], v[4:5], 0, s[12:13]
	global_load_dwordx4 v[4:7], v[8:9], off
	global_load_dwordx4 v[98:101], v16, s[2:3] offset:400
	v_lshl_add_u64 v[12:13], v[8:9], 0, s[12:13]
	v_lshl_add_u64 v[18:19], v[12:13], 0, s[12:13]
	global_load_dwordx4 v[70:73], v16, s[2:3] offset:800
	global_load_dwordx4 v[8:11], v[12:13], off
	s_nop 0
	global_load_dwordx4 v[12:15], v[18:19], off
	global_load_dwordx4 v[94:97], v16, s[2:3] offset:1200
	v_lshl_add_u64 v[18:19], v[18:19], 0, s[12:13]
	global_load_dwordx4 v[22:25], v[18:19], off
	global_load_dwordx4 v[74:77], v16, s[2:3] offset:1600
	v_lshl_add_u64 v[18:19], v[18:19], 0, s[12:13]
	global_load_dwordx4 v[86:89], v16, s[2:3] offset:2000
	global_load_dwordx4 v[26:29], v[18:19], off
	v_lshl_add_u64 v[18:19], v[18:19], 0, s[12:13]
	global_load_dwordx4 v[30:33], v[18:19], off
	global_load_dwordx4 v[78:81], v16, s[2:3] offset:2400
	global_load_dwordx4 v[90:93], v16, s[2:3] offset:2800
	v_lshl_add_u64 v[18:19], v[18:19], 0, s[12:13]
	global_load_dwordx4 v[34:37], v[18:19], off
	v_lshl_add_u64 v[18:19], v[18:19], 0, s[12:13]
	global_load_dwordx4 v[44:47], v[18:19], off
	global_load_dwordx4 v[82:85], v16, s[2:3] offset:3200
	global_load_dwordx4 v[118:121], v16, s[2:3] offset:3600
	v_lshl_add_u64 v[18:19], v[18:19], 0, s[12:13]
	global_load_dwordx4 v[48:51], v[18:19], off
	global_load_dwordx4 v[110:113], v16, s[2:3] offset:4000
	v_lshl_add_u64 v[18:19], v[18:19], 0, s[12:13]
	v_mov_b32_e32 v17, v185
	global_load_dwordx4 v[52:55], v[18:19], off
	s_movk_i32 s4, 0x1000
	v_lshl_add_u64 v[38:39], s[2:3], 0, v[16:17]
	v_add_co_u32_e32 v42, vcc, s4, v38
	v_lshl_add_u64 v[18:19], v[18:19], 0, s[12:13]
	s_nop 0
	v_addc_co_u32_e32 v43, vcc, 0, v39, vcc
	global_load_dwordx4 v[56:59], v[18:19], off
	global_load_dwordx4 v[102:105], v[42:43], off offset:304
	global_load_dwordx4 v[106:109], v[42:43], off offset:704
	v_lshl_add_u64 v[18:19], v[18:19], 0, s[12:13]
	global_load_dwordx4 v[60:63], v[18:19], off
	v_and_b32_e32 v17, 3, v20
	v_mul_u32_u24_e32 v17, 0x145, v17
	v_lshlrev_b32_e32 v222, 4, v17
	v_add_u32_e32 v116, v222, v16
	s_load_dwordx2 s[10:11], s[0:1], 0x38
	v_accvgpr_write_b32 a2, v38
	s_load_dwordx4 s[4:7], s[6:7], 0x0
	v_accvgpr_write_b32 a3, v39
	v_cmp_gt_u16_e32 vcc, 12, v184
	s_waitcnt vmcnt(25)
	v_accvgpr_write_b32 a6, v66
	v_accvgpr_write_b32 a7, v67
	;; [unrolled: 1-line block ×4, first 2 shown]
	s_waitcnt vmcnt(24)
	v_mul_f64 v[64:65], v[2:3], v[68:69]
	v_mul_f64 v[16:17], v[0:1], v[68:69]
	v_fmac_f64_e32 v[64:65], v[0:1], v[66:67]
	v_fma_f64 v[66:67], v[2:3], v[66:67], -v[16:17]
	s_waitcnt vmcnt(22)
	v_mul_f64 v[0:1], v[6:7], v[100:101]
	v_mul_f64 v[2:3], v[4:5], v[100:101]
	v_fmac_f64_e32 v[0:1], v[4:5], v[98:99]
	v_fma_f64 v[2:3], v[6:7], v[98:99], -v[2:3]
	ds_write_b128 v116, v[0:3] offset:400
	s_waitcnt vmcnt(18)
	v_mul_f64 v[0:1], v[14:15], v[96:97]
	v_mul_f64 v[2:3], v[12:13], v[96:97]
	v_fmac_f64_e32 v[0:1], v[12:13], v[94:95]
	v_fma_f64 v[2:3], v[14:15], v[94:95], -v[2:3]
	ds_write_b128 v116, v[0:3] offset:1200
	;; [unrolled: 6-line block ×7, first 2 shown]
	s_waitcnt vmcnt(4)
	v_mul_f64 v[0:1], v[54:55], v[112:113]
	v_mul_f64 v[2:3], v[52:53], v[112:113]
	v_fmac_f64_e32 v[0:1], v[52:53], v[110:111]
	v_fma_f64 v[2:3], v[54:55], v[110:111], -v[2:3]
	v_mul_f64 v[4:5], v[10:11], v[72:73]
	v_mul_f64 v[6:7], v[8:9], v[72:73]
	ds_write_b128 v116, v[0:3] offset:4000
	s_waitcnt vmcnt(2)
	v_mul_f64 v[0:1], v[58:59], v[104:105]
	v_mul_f64 v[2:3], v[56:57], v[104:105]
	v_fmac_f64_e32 v[4:5], v[8:9], v[70:71]
	v_fma_f64 v[6:7], v[10:11], v[70:71], -v[6:7]
	v_fmac_f64_e32 v[0:1], v[56:57], v[102:103]
	v_fma_f64 v[2:3], v[58:59], v[102:103], -v[2:3]
	v_accvgpr_write_b32 a38, v98
	v_accvgpr_write_b32 a10, v70
	ds_write_b128 v116, v[4:7] offset:800
	v_accvgpr_write_b32 a34, v94
	v_mul_f64 v[4:5], v[24:25], v[76:77]
	v_mul_f64 v[6:7], v[22:23], v[76:77]
	v_accvgpr_write_b32 a14, v74
	v_accvgpr_write_b32 a26, v86
	;; [unrolled: 1-line block ×8, first 2 shown]
	ds_write_b128 v116, v[0:3] offset:4400
	s_waitcnt vmcnt(0)
	v_mul_f64 v[0:1], v[62:63], v[108:109]
	v_mul_f64 v[2:3], v[60:61], v[108:109]
	v_accvgpr_write_b32 a46, v106
	v_accvgpr_write_b32 a39, v99
	;; [unrolled: 1-line block ×10, first 2 shown]
	v_fmac_f64_e32 v[4:5], v[22:23], v[74:75]
	v_accvgpr_write_b32 a15, v75
	v_accvgpr_write_b32 a16, v76
	;; [unrolled: 1-line block ×3, first 2 shown]
	v_fma_f64 v[6:7], v[24:25], v[74:75], -v[6:7]
	v_accvgpr_write_b32 a27, v87
	v_accvgpr_write_b32 a28, v88
	;; [unrolled: 1-line block ×21, first 2 shown]
	v_fmac_f64_e32 v[0:1], v[60:61], v[106:107]
	v_accvgpr_write_b32 a47, v107
	v_accvgpr_write_b32 a48, v108
	;; [unrolled: 1-line block ×3, first 2 shown]
	v_fma_f64 v[2:3], v[62:63], v[106:107], -v[2:3]
	ds_write_b128 v116, v[64:67]
	ds_write_b128 v116, v[4:7] offset:1600
	ds_write_b128 v116, v[0:3] offset:4800
	s_and_saveexec_b64 s[14:15], vcc
	s_cbranch_execz .LBB0_3
; %bb.2:
	v_mov_b32_e32 v0, 0xffffee10
	v_mad_u64_u32 v[8:9], s[16:17], s8, v0, v[18:19]
	s_mul_i32 s16, s9, 0xffffee10
	s_sub_i32 s16, s16, s8
	v_accvgpr_read_b32 v73, a3
	v_add_u32_e32 v9, s16, v9
	v_accvgpr_read_b32 v72, a2
	global_load_dwordx4 v[0:3], v[8:9], off
	global_load_dwordx4 v[4:7], v[72:73], off offset:208
	v_lshl_add_u64 v[16:17], v[8:9], 0, s[12:13]
	global_load_dwordx4 v[8:11], v[16:17], off
	global_load_dwordx4 v[12:15], v[72:73], off offset:608
	v_lshl_add_u64 v[28:29], v[16:17], 0, s[12:13]
	v_lshl_add_u64 v[32:33], v[28:29], 0, s[12:13]
	global_load_dwordx4 v[16:19], v[28:29], off
	global_load_dwordx4 v[20:23], v[72:73], off offset:1008
	global_load_dwordx4 v[24:27], v[72:73], off offset:1408
	v_lshl_add_u64 v[48:49], v[32:33], 0, s[12:13]
	global_load_dwordx4 v[28:31], v[32:33], off
	v_lshl_add_u64 v[52:53], v[48:49], 0, s[12:13]
	global_load_dwordx4 v[32:35], v[48:49], off
	global_load_dwordx4 v[36:39], v[72:73], off offset:1808
	global_load_dwordx4 v[44:47], v[72:73], off offset:2208
	v_lshl_add_u64 v[64:65], v[52:53], 0, s[12:13]
	global_load_dwordx4 v[48:51], v[52:53], off
	s_nop 0
	global_load_dwordx4 v[52:55], v[64:65], off
	global_load_dwordx4 v[56:59], v[72:73], off offset:2608
	global_load_dwordx4 v[60:63], v[72:73], off offset:3008
	v_lshl_add_u64 v[76:77], v[64:65], 0, s[12:13]
	v_lshl_add_u64 v[80:81], v[76:77], 0, s[12:13]
	global_load_dwordx4 v[64:67], v[76:77], off
	global_load_dwordx4 v[68:71], v[72:73], off offset:3408
	s_nop 0
	global_load_dwordx4 v[72:75], v[72:73], off offset:3808
	v_or_b32_e32 v99, 0x120, v184
	global_load_dwordx4 v[76:79], v[80:81], off
	v_lshl_add_u64 v[88:89], v[80:81], 0, s[12:13]
	v_mad_u64_u32 v[96:97], s[16:17], s8, v99, 0
	global_load_dwordx4 v[80:83], v[88:89], off
	v_lshlrev_b32_e32 v84, 4, v99
	v_mov_b32_e32 v98, v97
	v_lshl_add_u64 v[100:101], v[88:89], 0, s[12:13]
	global_load_dwordx4 v[84:87], v84, s[2:3]
	s_nop 0
	global_load_dwordx4 v[88:91], v[100:101], off
	global_load_dwordx4 v[92:95], v[42:43], off offset:112
	v_mad_u64_u32 v[98:99], s[12:13], s9, v99, v[98:99]
	v_mov_b32_e32 v102, 0x320
	v_mov_b32_e32 v97, v98
	s_mul_i32 s18, s9, 0x320
	v_lshl_add_u64 v[40:41], v[96:97], 4, v[40:41]
	v_mad_u64_u32 v[100:101], s[8:9], s8, v102, v[100:101]
	global_load_dwordx4 v[96:99], v[40:41], off
	s_nop 0
	global_load_dwordx4 v[40:43], v[42:43], off offset:912
	v_add_u32_e32 v101, s18, v101
	global_load_dwordx4 v[100:103], v[100:101], off
	s_waitcnt vmcnt(24)
	v_mul_f64 v[104:105], v[2:3], v[6:7]
	v_mul_f64 v[6:7], v[0:1], v[6:7]
	v_fmac_f64_e32 v[104:105], v[0:1], v[4:5]
	v_fma_f64 v[106:107], v[2:3], v[4:5], -v[6:7]
	s_waitcnt vmcnt(22)
	v_mul_f64 v[0:1], v[10:11], v[14:15]
	v_mul_f64 v[2:3], v[8:9], v[14:15]
	v_fmac_f64_e32 v[0:1], v[8:9], v[12:13]
	v_fma_f64 v[2:3], v[10:11], v[12:13], -v[2:3]
	ds_write_b128 v116, v[0:3] offset:608
	s_waitcnt vmcnt(18)
	v_mul_f64 v[0:1], v[30:31], v[26:27]
	v_mul_f64 v[2:3], v[28:29], v[26:27]
	v_fmac_f64_e32 v[0:1], v[28:29], v[24:25]
	v_fma_f64 v[2:3], v[30:31], v[24:25], -v[2:3]
	ds_write_b128 v116, v[0:3] offset:1408
	;; [unrolled: 6-line block ×5, first 2 shown]
	s_waitcnt vmcnt(6)
	v_mul_f64 v[0:1], v[82:83], v[74:75]
	v_mul_f64 v[2:3], v[80:81], v[74:75]
	v_fmac_f64_e32 v[0:1], v[80:81], v[72:73]
	v_fma_f64 v[2:3], v[82:83], v[72:73], -v[2:3]
	v_mul_f64 v[4:5], v[18:19], v[22:23]
	v_mul_f64 v[6:7], v[16:17], v[22:23]
	ds_write_b128 v116, v[0:3] offset:3808
	s_waitcnt vmcnt(3)
	v_mul_f64 v[0:1], v[90:91], v[94:95]
	v_mul_f64 v[2:3], v[88:89], v[94:95]
	v_fmac_f64_e32 v[4:5], v[16:17], v[20:21]
	v_fma_f64 v[6:7], v[18:19], v[20:21], -v[6:7]
	v_fmac_f64_e32 v[0:1], v[88:89], v[92:93]
	v_fma_f64 v[2:3], v[90:91], v[92:93], -v[2:3]
	ds_write_b128 v116, v[4:7] offset:1008
	v_mul_f64 v[4:5], v[34:35], v[38:39]
	v_mul_f64 v[6:7], v[32:33], v[38:39]
	ds_write_b128 v116, v[0:3] offset:4208
	s_waitcnt vmcnt(2)
	v_mul_f64 v[0:1], v[98:99], v[86:87]
	v_mul_f64 v[2:3], v[96:97], v[86:87]
	v_fmac_f64_e32 v[4:5], v[32:33], v[36:37]
	v_fma_f64 v[6:7], v[34:35], v[36:37], -v[6:7]
	v_fmac_f64_e32 v[0:1], v[96:97], v[84:85]
	v_fma_f64 v[2:3], v[98:99], v[84:85], -v[2:3]
	ds_write_b128 v116, v[4:7] offset:1808
	;; [unrolled: 11-line block ×3, first 2 shown]
	ds_write_b128 v116, v[4:7] offset:2608
	ds_write_b128 v116, v[0:3] offset:5008
.LBB0_3:
	s_or_b64 exec, exec, s[14:15]
	s_waitcnt lgkmcnt(0)
	; wave barrier
	s_waitcnt lgkmcnt(0)
	ds_read_b128 v[40:43], v116
	ds_read_b128 v[108:111], v116 offset:400
	ds_read_b128 v[36:39], v116 offset:800
	;; [unrolled: 1-line block ×12, first 2 shown]
	s_load_dwordx2 s[0:1], s[0:1], 0x8
                                        ; implicit-def: $vgpr52_vgpr53
                                        ; implicit-def: $vgpr56_vgpr57
                                        ; implicit-def: $vgpr60_vgpr61
                                        ; implicit-def: $vgpr64_vgpr65
                                        ; implicit-def: $vgpr68_vgpr69
                                        ; implicit-def: $vgpr72_vgpr73
                                        ; implicit-def: $vgpr76_vgpr77
                                        ; implicit-def: $vgpr80_vgpr81
                                        ; implicit-def: $vgpr84_vgpr85
                                        ; implicit-def: $vgpr88_vgpr89
                                        ; implicit-def: $vgpr92_vgpr93
                                        ; implicit-def: $vgpr96_vgpr97
                                        ; implicit-def: $vgpr104_vgpr105
	s_and_saveexec_b64 s[8:9], vcc
	s_cbranch_execz .LBB0_5
; %bb.4:
	ds_read_b128 v[52:55], v116 offset:208
	ds_read_b128 v[56:59], v116 offset:608
	;; [unrolled: 1-line block ×13, first 2 shown]
.LBB0_5:
	s_or_b64 exec, exec, s[8:9]
	s_waitcnt lgkmcnt(0)
	v_add_f64 v[24:25], v[40:41], v[108:109]
	v_add_f64 v[26:27], v[42:43], v[110:111]
	;; [unrolled: 1-line block ×19, first 2 shown]
	s_mov_b32 s18, 0x4267c47c
	s_mov_b32 s14, 0x42a4c3d2
	;; [unrolled: 1-line block ×6, first 2 shown]
	v_add_f64 v[26:27], v[26:27], v[34:35]
	v_add_f64 v[24:25], v[24:25], v[100:101]
	v_add_f64 v[48:49], v[108:109], -v[112:113]
	v_add_f64 v[50:51], v[110:111], -v[114:115]
	s_mov_b32 s19, 0xbfddbe06
	s_mov_b32 s8, 0xe00740e9
	s_mov_b32 s15, 0xbfea55e2
	s_mov_b32 s12, 0x1ea71119
	s_mov_b32 s27, 0xbfefc445
	s_mov_b32 s16, 0xebaa3ed8
	s_mov_b32 s23, 0xbfedeba7
	s_mov_b32 s20, 0xb2365da1
	s_mov_b32 s35, 0xbfe5384d
	s_mov_b32 s24, 0xd0032e0c
	s_mov_b32 s31, 0xbfcea1e5
	s_mov_b32 s28, 0x93053d00
	v_add_f64 v[26:27], v[26:27], v[102:103]
	v_add_f64 v[24:25], v[24:25], v[112:113]
	;; [unrolled: 1-line block ×4, first 2 shown]
	v_mul_f64 v[108:109], v[50:51], s[18:19]
	s_mov_b32 s9, 0x3fec55a7
	v_mul_f64 v[112:113], v[48:49], s[18:19]
	v_mul_f64 v[118:119], v[50:51], s[14:15]
	s_mov_b32 s13, 0x3fe22d96
	v_mul_f64 v[122:123], v[48:49], s[14:15]
	;; [unrolled: 3-line block ×6, first 2 shown]
	v_add_f64 v[26:27], v[26:27], v[114:115]
	v_fma_f64 v[110:111], v[44:45], s[8:9], -v[108:109]
	v_fma_f64 v[114:115], s[8:9], v[46:47], v[112:113]
	v_fmac_f64_e32 v[108:109], s[8:9], v[44:45]
	v_fma_f64 v[112:113], v[46:47], s[8:9], -v[112:113]
	v_fma_f64 v[120:121], v[44:45], s[12:13], -v[118:119]
	v_fma_f64 v[124:125], s[12:13], v[46:47], v[122:123]
	v_fmac_f64_e32 v[118:119], s[12:13], v[44:45]
	v_fma_f64 v[122:123], v[46:47], s[12:13], -v[122:123]
	;; [unrolled: 4-line block ×6, first 2 shown]
	v_add_f64 v[46:47], v[38:39], v[102:103]
	v_add_f64 v[38:39], v[38:39], -v[102:103]
	v_add_f64 v[114:115], v[42:43], v[114:115]
	v_add_f64 v[112:113], v[42:43], v[112:113]
	;; [unrolled: 1-line block ×13, first 2 shown]
	v_add_f64 v[36:37], v[36:37], -v[100:101]
	v_mul_f64 v[48:49], v[38:39], s[14:15]
	v_add_f64 v[110:111], v[40:41], v[110:111]
	v_add_f64 v[108:109], v[40:41], v[108:109]
	v_add_f64 v[120:121], v[40:41], v[120:121]
	v_add_f64 v[118:119], v[40:41], v[118:119]
	v_add_f64 v[128:129], v[40:41], v[128:129]
	v_add_f64 v[126:127], v[40:41], v[126:127]
	v_add_f64 v[136:137], v[40:41], v[136:137]
	v_add_f64 v[134:135], v[40:41], v[134:135]
	v_add_f64 v[144:145], v[40:41], v[144:145]
	v_add_f64 v[142:143], v[40:41], v[142:143]
	v_add_f64 v[150:151], v[40:41], v[150:151]
	v_add_f64 v[40:41], v[40:41], v[50:51]
	v_fma_f64 v[50:51], v[44:45], s[12:13], -v[48:49]
	v_mul_f64 v[100:101], v[36:37], s[14:15]
	v_fmac_f64_e32 v[48:49], s[12:13], v[44:45]
	v_fma_f64 v[102:103], s[12:13], v[46:47], v[100:101]
	v_add_f64 v[48:49], v[48:49], v[108:109]
	v_fma_f64 v[100:101], v[46:47], s[12:13], -v[100:101]
	v_mul_f64 v[108:109], v[38:39], s[22:23]
	v_add_f64 v[50:51], v[50:51], v[110:111]
	v_add_f64 v[100:101], v[100:101], v[112:113]
	v_fma_f64 v[110:111], v[44:45], s[20:21], -v[108:109]
	v_mul_f64 v[112:113], v[36:37], s[22:23]
	v_fmac_f64_e32 v[108:109], s[20:21], v[44:45]
	v_add_f64 v[102:103], v[102:103], v[114:115]
	v_fma_f64 v[114:115], s[20:21], v[46:47], v[112:113]
	v_add_f64 v[108:109], v[108:109], v[118:119]
	v_fma_f64 v[112:113], v[46:47], s[20:21], -v[112:113]
	v_mul_f64 v[118:119], v[38:39], s[30:31]
	v_add_f64 v[110:111], v[110:111], v[120:121]
	v_add_f64 v[112:113], v[112:113], v[122:123]
	v_fma_f64 v[120:121], v[44:45], s[28:29], -v[118:119]
	v_mul_f64 v[122:123], v[36:37], s[30:31]
	v_fmac_f64_e32 v[118:119], s[28:29], v[44:45]
	s_mov_b32 s37, 0x3fe5384d
	s_mov_b32 s36, s34
	v_add_f64 v[114:115], v[114:115], v[124:125]
	v_fma_f64 v[124:125], s[28:29], v[46:47], v[122:123]
	v_add_f64 v[118:119], v[118:119], v[126:127]
	v_fma_f64 v[122:123], v[46:47], s[28:29], -v[122:123]
	v_mul_f64 v[126:127], v[38:39], s[36:37]
	v_add_f64 v[120:121], v[120:121], v[128:129]
	v_add_f64 v[122:123], v[122:123], v[130:131]
	v_fma_f64 v[128:129], v[44:45], s[24:25], -v[126:127]
	v_mul_f64 v[130:131], v[36:37], s[36:37]
	v_fmac_f64_e32 v[126:127], s[24:25], v[44:45]
	s_mov_b32 s39, 0x3fefc445
	s_mov_b32 s38, s26
	v_add_f64 v[124:125], v[124:125], v[132:133]
	v_fma_f64 v[132:133], s[24:25], v[46:47], v[130:131]
	v_add_f64 v[126:127], v[126:127], v[134:135]
	v_fma_f64 v[130:131], v[46:47], s[24:25], -v[130:131]
	v_mul_f64 v[134:135], v[38:39], s[38:39]
	s_mov_b32 s41, 0x3fddbe06
	s_mov_b32 s40, s18
	v_add_f64 v[128:129], v[128:129], v[136:137]
	v_add_f64 v[130:131], v[130:131], v[138:139]
	v_fma_f64 v[136:137], v[44:45], s[16:17], -v[134:135]
	v_mul_f64 v[138:139], v[36:37], s[38:39]
	v_mul_f64 v[36:37], v[36:37], s[40:41]
	v_add_f64 v[136:137], v[136:137], v[144:145]
	v_fmac_f64_e32 v[134:135], s[16:17], v[44:45]
	v_mul_f64 v[38:39], v[38:39], s[40:41]
	v_fma_f64 v[144:145], s[8:9], v[46:47], v[36:37]
	v_fma_f64 v[36:37], v[46:47], s[8:9], -v[36:37]
	v_add_f64 v[134:135], v[134:135], v[142:143]
	v_fma_f64 v[142:143], v[44:45], s[8:9], -v[38:39]
	v_fmac_f64_e32 v[38:39], s[8:9], v[44:45]
	v_add_f64 v[36:37], v[36:37], v[42:43]
	v_add_f64 v[42:43], v[30:31], v[34:35]
	v_add_f64 v[30:31], v[30:31], -v[34:35]
	v_add_f64 v[38:39], v[38:39], v[40:41]
	v_add_f64 v[40:41], v[28:29], v[32:33]
	v_add_f64 v[28:29], v[28:29], -v[32:33]
	v_mul_f64 v[32:33], v[30:31], s[26:27]
	v_fma_f64 v[34:35], v[40:41], s[16:17], -v[32:33]
	v_fmac_f64_e32 v[32:33], s[16:17], v[40:41]
	v_mul_f64 v[44:45], v[28:29], s[26:27]
	v_add_f64 v[32:33], v[32:33], v[48:49]
	v_mul_f64 v[48:49], v[30:31], s[30:31]
	v_add_f64 v[132:133], v[132:133], v[140:141]
	v_fma_f64 v[140:141], s[16:17], v[46:47], v[138:139]
	v_fma_f64 v[138:139], v[46:47], s[16:17], -v[138:139]
	v_add_f64 v[34:35], v[34:35], v[50:51]
	v_fma_f64 v[46:47], s[16:17], v[42:43], v[44:45]
	v_fma_f64 v[44:45], v[42:43], s[16:17], -v[44:45]
	v_fma_f64 v[50:51], v[40:41], s[28:29], -v[48:49]
	v_fmac_f64_e32 v[48:49], s[28:29], v[40:41]
	s_mov_b32 s43, 0x3fedeba7
	s_mov_b32 s42, s22
	v_add_f64 v[44:45], v[44:45], v[100:101]
	v_mul_f64 v[100:101], v[28:29], s[30:31]
	v_add_f64 v[48:49], v[48:49], v[108:109]
	v_mul_f64 v[108:109], v[30:31], s[42:43]
	v_add_f64 v[46:47], v[46:47], v[102:103]
	v_add_f64 v[50:51], v[50:51], v[110:111]
	v_fma_f64 v[102:103], s[28:29], v[42:43], v[100:101]
	v_fma_f64 v[100:101], v[42:43], s[28:29], -v[100:101]
	v_fma_f64 v[110:111], v[40:41], s[20:21], -v[108:109]
	v_fmac_f64_e32 v[108:109], s[20:21], v[40:41]
	v_add_f64 v[100:101], v[100:101], v[112:113]
	v_mul_f64 v[112:113], v[28:29], s[42:43]
	v_add_f64 v[108:109], v[108:109], v[118:119]
	v_mul_f64 v[118:119], v[30:31], s[40:41]
	v_add_f64 v[102:103], v[102:103], v[114:115]
	v_add_f64 v[110:111], v[110:111], v[120:121]
	v_fma_f64 v[114:115], s[20:21], v[42:43], v[112:113]
	v_fma_f64 v[112:113], v[42:43], s[20:21], -v[112:113]
	v_fma_f64 v[120:121], v[40:41], s[8:9], -v[118:119]
	v_fmac_f64_e32 v[118:119], s[8:9], v[40:41]
	;; [unrolled: 10-line block ×3, first 2 shown]
	v_mul_f64 v[30:31], v[30:31], s[34:35]
	v_add_f64 v[122:123], v[122:123], v[130:131]
	v_mul_f64 v[130:131], v[28:29], s[14:15]
	v_add_f64 v[126:127], v[126:127], v[134:135]
	v_fma_f64 v[134:135], v[40:41], s[24:25], -v[30:31]
	v_mul_f64 v[28:29], v[28:29], s[34:35]
	v_fmac_f64_e32 v[30:31], s[24:25], v[40:41]
	v_add_f64 v[128:129], v[128:129], v[136:137]
	v_fma_f64 v[136:137], s[24:25], v[42:43], v[28:29]
	v_add_f64 v[30:31], v[30:31], v[38:39]
	v_fma_f64 v[28:29], v[42:43], s[24:25], -v[28:29]
	v_add_f64 v[38:39], v[18:19], v[22:23]
	v_add_f64 v[18:19], v[18:19], -v[22:23]
	v_add_f64 v[28:29], v[28:29], v[36:37]
	v_add_f64 v[36:37], v[16:17], v[20:21]
	v_add_f64 v[16:17], v[16:17], -v[20:21]
	v_mul_f64 v[20:21], v[18:19], s[22:23]
	v_fma_f64 v[22:23], v[36:37], s[20:21], -v[20:21]
	v_add_f64 v[22:23], v[22:23], v[34:35]
	v_mul_f64 v[34:35], v[16:17], s[22:23]
	v_fmac_f64_e32 v[20:21], s[20:21], v[36:37]
	v_fma_f64 v[40:41], s[20:21], v[38:39], v[34:35]
	v_add_f64 v[20:21], v[20:21], v[32:33]
	v_fma_f64 v[32:33], v[38:39], s[20:21], -v[34:35]
	v_mul_f64 v[34:35], v[18:19], s[36:37]
	v_add_f64 v[124:125], v[124:125], v[132:133]
	v_fma_f64 v[132:133], s[12:13], v[42:43], v[130:131]
	v_fma_f64 v[130:131], v[42:43], s[12:13], -v[130:131]
	v_fma_f64 v[42:43], v[36:37], s[24:25], -v[34:35]
	v_fmac_f64_e32 v[34:35], s[24:25], v[36:37]
	v_add_f64 v[32:33], v[32:33], v[44:45]
	v_mul_f64 v[44:45], v[16:17], s[36:37]
	v_add_f64 v[34:35], v[34:35], v[48:49]
	v_mul_f64 v[48:49], v[18:19], s[40:41]
	v_add_f64 v[40:41], v[40:41], v[46:47]
	v_add_f64 v[42:43], v[42:43], v[50:51]
	v_fma_f64 v[46:47], s[24:25], v[38:39], v[44:45]
	v_fma_f64 v[44:45], v[38:39], s[24:25], -v[44:45]
	v_fma_f64 v[50:51], v[36:37], s[8:9], -v[48:49]
	v_fmac_f64_e32 v[48:49], s[8:9], v[36:37]
	v_add_f64 v[44:45], v[44:45], v[100:101]
	v_mul_f64 v[100:101], v[16:17], s[40:41]
	v_add_f64 v[48:49], v[48:49], v[108:109]
	v_mul_f64 v[108:109], v[18:19], s[26:27]
	v_add_f64 v[46:47], v[46:47], v[102:103]
	v_add_f64 v[50:51], v[50:51], v[110:111]
	v_fma_f64 v[102:103], s[8:9], v[38:39], v[100:101]
	v_fma_f64 v[100:101], v[38:39], s[8:9], -v[100:101]
	v_fma_f64 v[110:111], v[36:37], s[16:17], -v[108:109]
	v_fmac_f64_e32 v[108:109], s[16:17], v[36:37]
	s_mov_b32 s45, 0x3fcea1e5
	s_mov_b32 s44, s30
	v_add_f64 v[100:101], v[100:101], v[112:113]
	v_mul_f64 v[112:113], v[16:17], s[26:27]
	v_add_f64 v[108:109], v[108:109], v[118:119]
	v_mul_f64 v[118:119], v[18:19], s[44:45]
	s_mov_b32 s47, 0x3fea55e2
	s_mov_b32 s46, s14
	v_add_f64 v[102:103], v[102:103], v[114:115]
	v_add_f64 v[110:111], v[110:111], v[120:121]
	v_fma_f64 v[114:115], s[16:17], v[38:39], v[112:113]
	v_fma_f64 v[112:113], v[38:39], s[16:17], -v[112:113]
	v_fma_f64 v[120:121], v[36:37], s[28:29], -v[118:119]
	v_fmac_f64_e32 v[118:119], s[28:29], v[36:37]
	v_mul_f64 v[18:19], v[18:19], s[46:47]
	v_add_f64 v[112:113], v[112:113], v[122:123]
	v_mul_f64 v[122:123], v[16:17], s[44:45]
	v_add_f64 v[118:119], v[118:119], v[126:127]
	v_fma_f64 v[126:127], v[36:37], s[12:13], -v[18:19]
	v_mul_f64 v[16:17], v[16:17], s[46:47]
	v_fmac_f64_e32 v[18:19], s[12:13], v[36:37]
	v_add_f64 v[120:121], v[120:121], v[128:129]
	v_fma_f64 v[128:129], s[12:13], v[38:39], v[16:17]
	v_add_f64 v[18:19], v[18:19], v[30:31]
	v_fma_f64 v[16:17], v[38:39], s[12:13], -v[16:17]
	v_add_f64 v[30:31], v[10:11], v[14:15]
	v_add_f64 v[10:11], v[10:11], -v[14:15]
	v_add_f64 v[16:17], v[16:17], v[28:29]
	v_add_f64 v[28:29], v[8:9], v[12:13]
	v_add_f64 v[8:9], v[8:9], -v[12:13]
	v_mul_f64 v[12:13], v[10:11], s[34:35]
	v_fma_f64 v[14:15], v[28:29], s[24:25], -v[12:13]
	v_add_f64 v[14:15], v[14:15], v[22:23]
	v_mul_f64 v[22:23], v[8:9], s[34:35]
	v_fmac_f64_e32 v[12:13], s[24:25], v[28:29]
	v_fma_f64 v[36:37], s[24:25], v[30:31], v[22:23]
	v_add_f64 v[12:13], v[12:13], v[20:21]
	v_fma_f64 v[20:21], v[30:31], s[24:25], -v[22:23]
	v_mul_f64 v[22:23], v[10:11], s[38:39]
	v_add_f64 v[114:115], v[114:115], v[124:125]
	v_fma_f64 v[124:125], s[28:29], v[38:39], v[122:123]
	v_fma_f64 v[122:123], v[38:39], s[28:29], -v[122:123]
	v_add_f64 v[20:21], v[20:21], v[32:33]
	v_fma_f64 v[32:33], v[28:29], s[16:17], -v[22:23]
	v_mul_f64 v[38:39], v[8:9], s[38:39]
	v_fmac_f64_e32 v[22:23], s[16:17], v[28:29]
	v_add_f64 v[36:37], v[36:37], v[40:41]
	v_fma_f64 v[40:41], s[16:17], v[30:31], v[38:39]
	v_add_f64 v[22:23], v[22:23], v[34:35]
	v_fma_f64 v[34:35], v[30:31], s[16:17], -v[38:39]
	v_mul_f64 v[38:39], v[10:11], s[14:15]
	v_add_f64 v[32:33], v[32:33], v[42:43]
	v_fma_f64 v[42:43], v[28:29], s[12:13], -v[38:39]
	v_fmac_f64_e32 v[38:39], s[12:13], v[28:29]
	v_add_f64 v[34:35], v[34:35], v[44:45]
	v_mul_f64 v[44:45], v[8:9], s[14:15]
	v_add_f64 v[38:39], v[38:39], v[48:49]
	v_mul_f64 v[48:49], v[10:11], s[44:45]
	v_add_f64 v[40:41], v[40:41], v[46:47]
	v_add_f64 v[42:43], v[42:43], v[50:51]
	v_fma_f64 v[46:47], s[12:13], v[30:31], v[44:45]
	v_fma_f64 v[44:45], v[30:31], s[12:13], -v[44:45]
	v_fma_f64 v[50:51], v[28:29], s[28:29], -v[48:49]
	v_add_f64 v[44:45], v[44:45], v[100:101]
	v_add_f64 v[100:101], v[50:51], v[110:111]
	v_mul_f64 v[50:51], v[8:9], s[44:45]
	v_fmac_f64_e32 v[48:49], s[28:29], v[28:29]
	v_add_f64 v[108:109], v[48:49], v[108:109]
	v_fma_f64 v[48:49], v[30:31], s[28:29], -v[50:51]
	v_add_f64 v[110:111], v[48:49], v[112:113]
	v_mul_f64 v[48:49], v[10:11], s[40:41]
	v_add_f64 v[138:139], v[138:139], v[146:147]
	v_add_f64 v[46:47], v[46:47], v[102:103]
	v_fma_f64 v[102:103], s[28:29], v[30:31], v[50:51]
	v_fma_f64 v[50:51], v[28:29], s[8:9], -v[48:49]
	v_add_f64 v[140:141], v[140:141], v[148:149]
	v_add_f64 v[142:143], v[142:143], v[150:151]
	;; [unrolled: 1-line block ×4, first 2 shown]
	v_mul_f64 v[50:51], v[8:9], s[40:41]
	v_fmac_f64_e32 v[48:49], s[8:9], v[28:29]
	v_add_f64 v[144:145], v[144:145], v[152:153]
	v_add_f64 v[132:133], v[132:133], v[140:141]
	;; [unrolled: 1-line block ×5, first 2 shown]
	v_fma_f64 v[48:49], v[30:31], s[8:9], -v[50:51]
	v_mul_f64 v[10:11], v[10:11], s[22:23]
	v_add_f64 v[136:137], v[136:137], v[144:145]
	v_add_f64 v[124:125], v[124:125], v[132:133]
	;; [unrolled: 1-line block ×4, first 2 shown]
	v_fma_f64 v[48:49], v[28:29], s[20:21], -v[10:11]
	v_mul_f64 v[8:9], v[8:9], s[22:23]
	v_add_f64 v[132:133], v[2:3], -v[6:7]
	v_add_f64 v[128:129], v[128:129], v[136:137]
	v_add_f64 v[102:103], v[102:103], v[114:115]
	v_fma_f64 v[114:115], s[8:9], v[30:31], v[50:51]
	v_add_f64 v[122:123], v[48:49], v[126:127]
	v_fma_f64 v[48:49], s[20:21], v[30:31], v[8:9]
	v_add_f64 v[126:127], v[0:1], v[4:5]
	v_add_f64 v[130:131], v[0:1], -v[4:5]
	v_mul_f64 v[4:5], v[132:133], s[30:31]
	v_add_f64 v[114:115], v[114:115], v[124:125]
	v_add_f64 v[124:125], v[48:49], v[128:129]
	v_add_f64 v[128:129], v[2:3], v[6:7]
	v_fma_f64 v[0:1], v[126:127], s[28:29], -v[4:5]
	v_mul_f64 v[6:7], v[130:131], s[30:31]
	v_fmac_f64_e32 v[4:5], s[28:29], v[126:127]
	v_fma_f64 v[8:9], v[30:31], s[20:21], -v[8:9]
	v_fma_f64 v[2:3], s[28:29], v[128:129], v[6:7]
	v_add_f64 v[4:5], v[4:5], v[12:13]
	v_fma_f64 v[6:7], v[128:129], s[28:29], -v[6:7]
	v_mul_f64 v[12:13], v[132:133], s[40:41]
	v_add_f64 v[30:31], v[8:9], v[16:17]
	v_add_f64 v[6:7], v[6:7], v[20:21]
	v_fma_f64 v[8:9], v[126:127], s[8:9], -v[12:13]
	v_fmac_f64_e32 v[12:13], s[8:9], v[126:127]
	v_mul_f64 v[20:21], v[132:133], s[34:35]
	v_add_f64 v[12:13], v[12:13], v[22:23]
	v_fma_f64 v[16:17], v[126:127], s[24:25], -v[20:21]
	v_mul_f64 v[22:23], v[130:131], s[34:35]
	v_fmac_f64_e32 v[20:21], s[24:25], v[126:127]
	v_add_f64 v[48:49], v[20:21], v[38:39]
	v_fma_f64 v[20:21], v[128:129], s[24:25], -v[22:23]
	v_fmac_f64_e32 v[10:11], s[20:21], v[28:29]
	v_add_f64 v[50:51], v[20:21], v[44:45]
	v_mul_f64 v[20:21], v[132:133], s[46:47]
	v_add_f64 v[28:29], v[10:11], v[18:19]
	v_fma_f64 v[18:19], s[24:25], v[128:129], v[22:23]
	v_fma_f64 v[22:23], v[126:127], s[12:13], -v[20:21]
	v_add_f64 v[100:101], v[22:23], v[100:101]
	v_mul_f64 v[22:23], v[130:131], s[46:47]
	v_fmac_f64_e32 v[20:21], s[12:13], v[126:127]
	v_add_f64 v[160:161], v[20:21], v[108:109]
	v_fma_f64 v[20:21], v[128:129], s[12:13], -v[22:23]
	v_add_f64 v[162:163], v[20:21], v[110:111]
	v_mul_f64 v[20:21], v[132:133], s[22:23]
	v_add_f64 v[8:9], v[8:9], v[32:33]
	v_fma_f64 v[32:33], s[12:13], v[128:129], v[22:23]
	v_fma_f64 v[22:23], v[126:127], s[20:21], -v[20:21]
	v_add_f64 v[164:165], v[22:23], v[112:113]
	v_mul_f64 v[22:23], v[130:131], s[22:23]
	v_fmac_f64_e32 v[20:21], s[20:21], v[126:127]
	v_add_f64 v[168:169], v[20:21], v[118:119]
	v_fma_f64 v[20:21], v[128:129], s[20:21], -v[22:23]
	v_add_f64 v[170:171], v[20:21], v[120:121]
	v_mul_f64 v[20:21], v[132:133], s[38:39]
	v_add_f64 v[102:103], v[32:33], v[102:103]
	v_fma_f64 v[32:33], s[20:21], v[128:129], v[22:23]
	v_fma_f64 v[22:23], v[126:127], s[16:17], -v[20:21]
	v_add_f64 v[172:173], v[22:23], v[122:123]
	v_mul_f64 v[22:23], v[130:131], s[38:39]
	v_fmac_f64_e32 v[20:21], s[16:17], v[126:127]
	v_add_f64 v[166:167], v[32:33], v[114:115]
	v_fma_f64 v[32:33], s[16:17], v[128:129], v[22:23]
	v_add_f64 v[176:177], v[20:21], v[28:29]
	v_fma_f64 v[20:21], v[128:129], s[16:17], -v[22:23]
	v_add_f64 v[120:121], v[58:59], -v[106:107]
	v_add_f64 v[16:17], v[16:17], v[42:43]
	v_add_f64 v[174:175], v[32:33], v[124:125]
	;; [unrolled: 1-line block ×4, first 2 shown]
	v_add_f64 v[42:43], v[56:57], -v[104:105]
	v_mul_f64 v[20:21], v[120:121], s[18:19]
	v_add_f64 v[0:1], v[0:1], v[14:15]
	v_mul_f64 v[14:15], v[130:131], s[40:41]
	v_add_f64 v[134:135], v[58:59], v[106:107]
	v_mul_f64 v[28:29], v[42:43], s[18:19]
	v_fma_f64 v[22:23], s[8:9], v[32:33], v[20:21]
	v_fma_f64 v[10:11], s[8:9], v[128:129], v[14:15]
	v_fma_f64 v[14:15], v[128:129], s[8:9], -v[14:15]
	v_add_f64 v[30:31], v[52:53], v[22:23]
	v_fma_f64 v[22:23], v[134:135], s[8:9], -v[28:29]
	v_add_f64 v[128:129], v[62:63], -v[98:99]
	v_add_f64 v[2:3], v[2:3], v[36:37]
	v_add_f64 v[36:37], v[54:55], v[22:23]
	;; [unrolled: 1-line block ×3, first 2 shown]
	v_add_f64 v[110:111], v[60:61], -v[96:97]
	v_mul_f64 v[22:23], v[128:129], s[14:15]
	v_add_f64 v[10:11], v[10:11], v[40:41]
	v_add_f64 v[14:15], v[14:15], v[34:35]
	;; [unrolled: 1-line block ×3, first 2 shown]
	v_mul_f64 v[34:35], v[110:111], s[14:15]
	v_fma_f64 v[40:41], s[12:13], v[38:39], v[22:23]
	v_add_f64 v[44:45], v[40:41], v[30:31]
	v_fma_f64 v[30:31], v[140:141], s[12:13], -v[34:35]
	v_add_f64 v[136:137], v[66:67], -v[94:95]
	v_add_f64 v[18:19], v[18:19], v[46:47]
	v_add_f64 v[36:37], v[30:31], v[36:37]
	;; [unrolled: 1-line block ×3, first 2 shown]
	v_add_f64 v[122:123], v[64:65], -v[92:93]
	v_mul_f64 v[30:31], v[136:137], s[26:27]
	v_add_f64 v[146:147], v[66:67], v[94:95]
	v_mul_f64 v[40:41], v[122:123], s[26:27]
	v_fma_f64 v[108:109], s[16:17], v[46:47], v[30:31]
	v_add_f64 v[44:45], v[108:109], v[44:45]
	v_fma_f64 v[108:109], v[146:147], s[16:17], -v[40:41]
	v_add_f64 v[142:143], v[70:71], -v[90:91]
	v_add_f64 v[112:113], v[108:109], v[36:37]
	v_add_f64 v[114:115], v[68:69], v[88:89]
	v_add_f64 v[130:131], v[68:69], -v[88:89]
	v_mul_f64 v[36:37], v[142:143], s[22:23]
	v_add_f64 v[150:151], v[70:71], v[90:91]
	v_mul_f64 v[108:109], v[130:131], s[22:23]
	v_fma_f64 v[118:119], s[20:21], v[114:115], v[36:37]
	v_add_f64 v[126:127], v[118:119], v[44:45]
	v_fma_f64 v[44:45], v[150:151], s[20:21], -v[108:109]
	v_add_f64 v[148:149], v[74:75], -v[86:87]
	v_add_f64 v[112:113], v[44:45], v[112:113]
	v_add_f64 v[124:125], v[72:73], v[84:85]
	;; [unrolled: 10-line block ×3, first 2 shown]
	v_add_f64 v[144:145], v[76:77], -v[80:81]
	v_mul_f64 v[112:113], v[152:153], s[30:31]
	v_add_f64 v[158:159], v[78:79], v[82:83]
	v_mul_f64 v[126:127], v[144:145], s[30:31]
	v_fma_f64 v[182:183], s[28:29], v[132:133], v[112:113]
	v_mul_lo_u16_e32 v117, 13, v184
	v_lshl_add_u64 v[200:201], v[184:185], 0, 13
	v_add_f64 v[186:187], v[182:183], v[156:157]
	v_fma_f64 v[156:157], v[158:159], s[28:29], -v[126:127]
	v_lshl_add_u32 v117, v117, 4, v222
	v_add_f64 v[188:189], v[156:157], v[180:181]
	v_accvgpr_write_b32 a58, v186
	s_waitcnt lgkmcnt(0)
	; wave barrier
	ds_write_b128 v117, v[24:27]
	ds_write_b128 v117, v[0:3] offset:16
	ds_write_b128 v117, v[8:11] offset:32
	;; [unrolled: 1-line block ×12, first 2 shown]
	v_mul_u32_u24_e32 v0, 13, v200
	v_accvgpr_write_b32 a59, v187
	v_accvgpr_write_b32 a60, v188
	;; [unrolled: 1-line block ×4, first 2 shown]
	s_mov_b64 s[48:49], exec
	v_accvgpr_write_b32 a0, v184
	s_and_b64 s[50:51], s[48:49], vcc
	v_accvgpr_write_b32 a1, v185
	s_mov_b64 exec, s[50:51]
	s_cbranch_execz .LBB0_7
; %bb.6:
	v_mul_f64 v[170:171], v[134:135], s[28:29]
	v_mul_f64 v[16:17], v[140:141], s[8:9]
	v_fma_f64 v[172:173], s[44:45], v[42:43], v[170:171]
	v_mul_f64 v[184:185], v[120:121], s[30:31]
	v_mul_f64 v[12:13], v[146:147], s[24:25]
	v_fma_f64 v[18:19], s[18:19], v[110:111], v[16:17]
	v_add_f64 v[172:173], v[54:55], v[172:173]
	v_mul_f64 v[180:181], v[128:129], s[40:41]
	v_fma_f64 v[186:187], s[28:29], v[32:33], v[184:185]
	v_mul_f64 v[8:9], v[150:151], s[12:13]
	v_fma_f64 v[14:15], s[36:37], v[122:123], v[12:13]
	v_add_f64 v[18:19], v[18:19], v[172:173]
	v_mul_f64 v[176:177], v[136:137], s[34:35]
	v_fma_f64 v[182:183], s[8:9], v[38:39], v[180:181]
	v_add_f64 v[186:187], v[52:53], v[186:187]
	;; [unrolled: 3-line block ×6, first 2 shown]
	v_fma_f64 v[0:1], s[26:27], v[144:145], v[4:5]
	v_add_f64 v[2:3], v[2:3], v[10:11]
	v_mul_f64 v[10:11], v[152:153], s[38:39]
	v_fma_f64 v[18:19], s[20:21], v[124:125], v[14:15]
	v_add_f64 v[174:175], v[174:175], v[178:179]
	v_add_f64 v[2:3], v[0:1], v[2:3]
	v_fma_f64 v[0:1], s[16:17], v[132:133], v[10:11]
	v_add_f64 v[18:19], v[18:19], v[174:175]
	v_fmac_f64_e32 v[170:171], s[30:31], v[42:43]
	v_add_f64 v[0:1], v[0:1], v[18:19]
	v_fmac_f64_e32 v[16:17], s[40:41], v[110:111]
	v_add_f64 v[18:19], v[54:55], v[170:171]
	v_fmac_f64_e32 v[12:13], s[34:35], v[122:123]
	v_add_f64 v[16:17], v[16:17], v[18:19]
	v_fmac_f64_e32 v[8:9], s[46:47], v[130:131]
	v_add_f64 v[12:13], v[12:13], v[16:17]
	v_fmac_f64_e32 v[6:7], s[22:23], v[138:139]
	v_add_f64 v[8:9], v[8:9], v[12:13]
	v_fma_f64 v[16:17], v[32:33], s[28:29], -v[184:185]
	v_mul_f64 v[178:179], v[134:135], s[24:25]
	v_add_f64 v[6:7], v[6:7], v[8:9]
	v_fma_f64 v[8:9], v[124:125], s[20:21], -v[14:15]
	v_fma_f64 v[14:15], v[38:39], s[8:9], -v[180:181]
	v_add_f64 v[16:17], v[52:53], v[16:17]
	v_mul_f64 v[174:175], v[140:141], s[16:17]
	v_fma_f64 v[180:181], s[36:37], v[42:43], v[178:179]
	v_mul_f64 v[192:193], v[120:121], s[34:35]
	v_fmac_f64_e32 v[4:5], s[38:39], v[144:145]
	v_fma_f64 v[12:13], v[46:47], s[24:25], -v[176:177]
	v_add_f64 v[14:15], v[14:15], v[16:17]
	v_mul_f64 v[170:171], v[146:147], s[12:13]
	v_fma_f64 v[176:177], s[26:27], v[110:111], v[174:175]
	v_add_f64 v[180:181], v[54:55], v[180:181]
	v_mul_f64 v[188:189], v[128:129], s[38:39]
	v_fma_f64 v[194:195], s[24:25], v[32:33], v[192:193]
	v_add_f64 v[6:7], v[4:5], v[6:7]
	v_fma_f64 v[4:5], v[132:133], s[16:17], -v[10:11]
	v_fma_f64 v[10:11], v[114:115], s[12:13], -v[172:173]
	v_add_f64 v[12:13], v[12:13], v[14:15]
	v_mul_f64 v[16:17], v[150:151], s[28:29]
	v_fma_f64 v[172:173], s[46:47], v[122:123], v[170:171]
	v_add_f64 v[176:177], v[176:177], v[180:181]
	v_mul_f64 v[184:185], v[136:137], s[14:15]
	v_fma_f64 v[190:191], s[16:17], v[38:39], v[188:189]
	v_add_f64 v[194:195], v[52:53], v[194:195]
	v_add_f64 v[10:11], v[10:11], v[12:13]
	v_mul_f64 v[14:15], v[154:155], s[8:9]
	v_fma_f64 v[18:19], s[30:31], v[130:131], v[16:17]
	v_add_f64 v[172:173], v[172:173], v[176:177]
	v_mul_f64 v[180:181], v[142:143], s[44:45]
	v_fma_f64 v[186:187], s[12:13], v[46:47], v[184:185]
	v_add_f64 v[190:191], v[190:191], v[194:195]
	v_add_f64 v[8:9], v[8:9], v[10:11]
	v_mul_f64 v[12:13], v[158:159], s[20:21]
	v_fma_f64 v[10:11], s[18:19], v[138:139], v[14:15]
	v_add_f64 v[18:19], v[18:19], v[172:173]
	v_mul_f64 v[172:173], v[148:149], s[40:41]
	v_fma_f64 v[182:183], s[28:29], v[114:115], v[180:181]
	v_add_f64 v[186:187], v[186:187], v[190:191]
	v_add_f64 v[4:5], v[4:5], v[8:9]
	v_fma_f64 v[8:9], s[42:43], v[144:145], v[12:13]
	v_add_f64 v[10:11], v[10:11], v[18:19]
	v_mul_f64 v[18:19], v[152:153], s[22:23]
	v_fma_f64 v[176:177], s[8:9], v[124:125], v[172:173]
	v_add_f64 v[182:183], v[182:183], v[186:187]
	v_add_f64 v[10:11], v[8:9], v[10:11]
	v_fma_f64 v[8:9], s[20:21], v[132:133], v[18:19]
	v_add_f64 v[176:177], v[176:177], v[182:183]
	v_fmac_f64_e32 v[178:179], s[34:35], v[42:43]
	v_add_f64 v[8:9], v[8:9], v[176:177]
	v_fmac_f64_e32 v[174:175], s[38:39], v[110:111]
	v_add_f64 v[176:177], v[54:55], v[178:179]
	v_fmac_f64_e32 v[170:171], s[14:15], v[122:123]
	v_add_f64 v[174:175], v[174:175], v[176:177]
	v_fmac_f64_e32 v[16:17], s[44:45], v[130:131]
	v_add_f64 v[170:171], v[170:171], v[174:175]
	v_fmac_f64_e32 v[14:15], s[40:41], v[138:139]
	v_add_f64 v[16:17], v[16:17], v[170:171]
	v_fma_f64 v[174:175], v[32:33], s[24:25], -v[192:193]
	v_mul_f64 v[186:187], v[134:135], s[20:21]
	v_add_f64 v[14:15], v[14:15], v[16:17]
	v_fma_f64 v[16:17], v[124:125], s[8:9], -v[172:173]
	v_fma_f64 v[172:173], v[38:39], s[16:17], -v[188:189]
	v_add_f64 v[174:175], v[52:53], v[174:175]
	v_mul_f64 v[182:183], v[140:141], s[24:25]
	v_fma_f64 v[188:189], s[42:43], v[42:43], v[186:187]
	v_mul_f64 v[202:203], v[120:121], s[22:23]
	v_fmac_f64_e32 v[12:13], s[22:23], v[144:145]
	v_fma_f64 v[170:171], v[46:47], s[12:13], -v[184:185]
	v_add_f64 v[172:173], v[172:173], v[174:175]
	v_mul_f64 v[178:179], v[146:147], s[8:9]
	v_fma_f64 v[184:185], s[34:35], v[110:111], v[182:183]
	v_add_f64 v[188:189], v[54:55], v[188:189]
	v_mul_f64 v[196:197], v[128:129], s[36:37]
	v_fma_f64 v[204:205], s[20:21], v[32:33], v[202:203]
	v_add_f64 v[14:15], v[12:13], v[14:15]
	v_fma_f64 v[12:13], v[132:133], s[20:21], -v[18:19]
	v_fma_f64 v[18:19], v[114:115], s[28:29], -v[180:181]
	v_add_f64 v[170:171], v[170:171], v[172:173]
	v_mul_f64 v[174:175], v[150:151], s[16:17]
	v_fma_f64 v[180:181], s[18:19], v[122:123], v[178:179]
	v_add_f64 v[184:185], v[184:185], v[188:189]
	v_mul_f64 v[192:193], v[136:137], s[40:41]
	v_fma_f64 v[198:199], s[24:25], v[38:39], v[196:197]
	v_add_f64 v[204:205], v[52:53], v[204:205]
	v_add_f64 v[18:19], v[18:19], v[170:171]
	v_mul_f64 v[172:173], v[154:155], s[28:29]
	v_fma_f64 v[176:177], s[38:39], v[130:131], v[174:175]
	v_add_f64 v[180:181], v[180:181], v[184:185]
	v_mul_f64 v[188:189], v[142:143], s[26:27]
	v_fma_f64 v[194:195], s[8:9], v[46:47], v[192:193]
	v_add_f64 v[198:199], v[198:199], v[204:205]
	v_add_f64 v[16:17], v[16:17], v[18:19]
	v_mul_f64 v[170:171], v[158:159], s[12:13]
	v_fma_f64 v[18:19], s[30:31], v[138:139], v[172:173]
	v_add_f64 v[176:177], v[176:177], v[180:181]
	v_mul_f64 v[180:181], v[148:149], s[44:45]
	v_fma_f64 v[190:191], s[16:17], v[114:115], v[188:189]
	v_add_f64 v[194:195], v[194:195], v[198:199]
	v_add_f64 v[12:13], v[12:13], v[16:17]
	;; [unrolled: 60-line block ×3, first 2 shown]
	v_fma_f64 v[174:175], s[36:37], v[144:145], v[178:179]
	v_add_f64 v[176:177], v[176:177], v[184:185]
	v_mul_f64 v[184:185], v[152:153], s[34:35]
	v_fma_f64 v[192:193], s[12:13], v[124:125], v[188:189]
	v_add_f64 v[198:199], v[198:199], v[204:205]
	v_add_f64 v[176:177], v[174:175], v[176:177]
	v_fma_f64 v[174:175], s[24:25], v[132:133], v[184:185]
	v_add_f64 v[192:193], v[192:193], v[198:199]
	v_fmac_f64_e32 v[194:195], s[26:27], v[42:43]
	v_add_f64 v[174:175], v[174:175], v[192:193]
	v_fmac_f64_e32 v[190:191], s[30:31], v[110:111]
	;; [unrolled: 2-line block ×5, first 2 shown]
	v_add_f64 v[182:183], v[182:183], v[186:187]
	v_fma_f64 v[190:191], v[32:33], s[16:17], -v[210:211]
	v_mul_f64 v[100:101], v[134:135], s[8:9]
	v_add_f64 v[180:181], v[180:181], v[182:183]
	v_fma_f64 v[182:183], v[124:125], s[12:13], -v[188:189]
	v_fma_f64 v[188:189], v[38:39], s[28:29], -v[206:207]
	v_add_f64 v[190:191], v[52:53], v[190:191]
	v_mul_f64 v[134:135], v[134:135], s[12:13]
	v_mul_f64 v[50:51], v[140:141], s[12:13]
	v_fmac_f64_e32 v[178:179], s[34:35], v[144:145]
	v_fma_f64 v[186:187], v[46:47], s[20:21], -v[202:203]
	v_add_f64 v[188:189], v[188:189], v[190:191]
	v_mul_f64 v[140:141], v[140:141], s[20:21]
	v_fma_f64 v[192:193], s[46:47], v[42:43], v[134:135]
	v_mul_f64 v[162:163], v[146:147], s[16:17]
	v_add_f64 v[180:181], v[178:179], v[180:181]
	v_fma_f64 v[178:179], v[132:133], s[24:25], -v[184:185]
	v_fma_f64 v[184:185], v[114:115], s[8:9], -v[196:197]
	v_add_f64 v[186:187], v[186:187], v[188:189]
	v_mul_f64 v[146:147], v[146:147], s[28:29]
	v_fma_f64 v[190:191], s[42:43], v[110:111], v[140:141]
	v_add_f64 v[192:193], v[54:55], v[192:193]
	v_mul_f64 v[120:121], v[120:121], s[14:15]
	v_fmac_f64_e32 v[134:135], s[14:15], v[42:43]
	v_mul_f64 v[24:25], v[32:33], s[8:9]
	v_add_f64 v[184:185], v[184:185], v[186:187]
	v_mul_f64 v[186:187], v[150:151], s[24:25]
	v_fma_f64 v[188:189], s[44:45], v[122:123], v[146:147]
	v_add_f64 v[190:191], v[190:191], v[192:193]
	v_mul_f64 v[128:129], v[128:129], s[22:23]
	v_fma_f64 v[194:195], s[12:13], v[32:33], v[120:121]
	v_fmac_f64_e32 v[140:141], s[22:23], v[110:111]
	v_add_f64 v[42:43], v[54:55], v[134:135]
	v_fma_f64 v[32:33], v[32:33], s[12:13], -v[120:121]
	v_mul_f64 v[26:27], v[38:39], s[12:13]
	v_mul_f64 v[164:165], v[150:151], s[20:21]
	;; [unrolled: 1-line block ×4, first 2 shown]
	v_fma_f64 v[150:151], s[34:35], v[130:131], v[186:187]
	v_add_f64 v[188:189], v[188:189], v[190:191]
	v_mul_f64 v[136:137], v[136:137], s[30:31]
	v_fma_f64 v[192:193], s[20:21], v[38:39], v[128:129]
	v_fmac_f64_e32 v[146:147], s[30:31], v[122:123]
	v_add_f64 v[42:43], v[140:141], v[42:43]
	v_fma_f64 v[38:39], v[38:39], s[20:21], -v[128:129]
	v_add_f64 v[32:33], v[52:53], v[32:33]
	v_mul_f64 v[156:157], v[46:47], s[16:17]
	v_add_f64 v[182:183], v[182:183], v[184:185]
	v_fma_f64 v[184:185], s[26:27], v[138:139], v[154:155]
	v_add_f64 v[150:151], v[150:151], v[188:189]
	v_mul_f64 v[142:143], v[142:143], s[36:37]
	v_fma_f64 v[190:191], s[28:29], v[46:47], v[136:137]
	v_fmac_f64_e32 v[186:187], s[36:37], v[130:131]
	v_add_f64 v[42:43], v[146:147], v[42:43]
	v_fma_f64 v[46:47], v[46:47], s[28:29], -v[136:137]
	v_add_f64 v[32:33], v[38:39], v[32:33]
	v_mul_f64 v[160:161], v[114:115], s[20:21]
	v_mul_f64 v[168:169], v[158:159], s[28:29]
	;; [unrolled: 1-line block ×3, first 2 shown]
	v_add_f64 v[150:151], v[184:185], v[150:151]
	v_mul_f64 v[184:185], v[148:149], s[38:39]
	v_fma_f64 v[188:189], s[24:25], v[114:115], v[142:143]
	v_fmac_f64_e32 v[154:155], s[38:39], v[138:139]
	v_add_f64 v[42:43], v[186:187], v[42:43]
	v_fma_f64 v[114:115], v[114:115], s[24:25], -v[142:143]
	v_add_f64 v[32:33], v[46:47], v[32:33]
	v_add_f64 v[28:29], v[28:29], v[100:101]
	v_add_f64 v[178:179], v[178:179], v[182:183]
	v_fma_f64 v[182:183], s[18:19], v[144:145], v[158:159]
	v_mul_f64 v[152:153], v[152:153], s[40:41]
	v_fmac_f64_e32 v[158:159], s[40:41], v[144:145]
	v_add_f64 v[42:43], v[154:155], v[42:43]
	v_fma_f64 v[110:111], v[124:125], s[16:17], -v[184:185]
	v_add_f64 v[32:33], v[114:115], v[32:33]
	v_add_f64 v[34:35], v[34:35], v[50:51]
	;; [unrolled: 1-line block ×3, first 2 shown]
	v_add_f64 v[20:21], v[24:25], -v[20:21]
	v_add_f64 v[122:123], v[158:159], v[42:43]
	v_fma_f64 v[42:43], v[132:133], s[8:9], -v[152:153]
	v_add_f64 v[32:33], v[110:111], v[32:33]
	v_add_f64 v[40:41], v[40:41], v[162:163]
	;; [unrolled: 1-line block ×3, first 2 shown]
	v_add_f64 v[22:23], v[26:27], -v[22:23]
	v_add_f64 v[20:21], v[52:53], v[20:21]
	v_add_f64 v[120:121], v[42:43], v[32:33]
	;; [unrolled: 1-line block ×4, first 2 shown]
	v_add_f64 v[30:31], v[156:157], -v[30:31]
	v_add_f64 v[20:21], v[22:23], v[20:21]
	v_mul_f64 v[48:49], v[124:125], s[24:25]
	v_add_f64 v[38:39], v[118:119], v[166:167]
	v_add_f64 v[28:29], v[42:43], v[28:29]
	v_add_f64 v[36:37], v[160:161], -v[36:37]
	v_add_f64 v[20:21], v[30:31], v[20:21]
	v_mul_f64 v[102:103], v[132:133], s[28:29]
	v_add_f64 v[32:33], v[126:127], v[168:169]
	v_add_f64 v[28:29], v[38:39], v[28:29]
	v_add_f64 v[34:35], v[48:49], -v[44:45]
	v_add_f64 v[20:21], v[36:37], v[20:21]
	v_add_f64 v[28:29], v[32:33], v[28:29]
	v_add_f64 v[32:33], v[102:103], -v[112:113]
	v_add_f64 v[20:21], v[34:35], v[20:21]
	v_add_f64 v[26:27], v[32:33], v[20:21]
	;; [unrolled: 1-line block ×27, first 2 shown]
	v_fma_f64 v[148:149], s[16:17], v[124:125], v[184:185]
	v_add_f64 v[188:189], v[188:189], v[190:191]
	v_accvgpr_read_b32 v185, a1
	v_add_f64 v[20:21], v[20:21], v[96:97]
	v_accvgpr_read_b32 v24, a5
	v_add_f64 v[150:151], v[182:183], v[150:151]
	v_fma_f64 v[182:183], s[8:9], v[132:133], v[152:153]
	v_add_f64 v[148:149], v[148:149], v[188:189]
	v_accvgpr_read_b32 v184, a0
	v_add_f64 v[20:21], v[20:21], v[104:105]
	v_lshl_add_u32 v24, v24, 4, v222
	v_add_f64 v[148:149], v[182:183], v[148:149]
	ds_write_b128 v24, v[20:23]
	ds_write_b128 v24, v[26:29] offset:16
	ds_write_b128 v24, v[120:123] offset:32
	;; [unrolled: 1-line block ×12, first 2 shown]
.LBB0_7:
	s_or_b64 exec, exec, s[48:49]
	v_lshl_add_u64 v[88:89], v[184:185], 0, 26
	s_movk_i32 s8, 0x4f
	v_mul_lo_u16_sdwa v8, v88, s8 dst_sel:DWORD dst_unused:UNUSED_PAD src0_sel:BYTE_0 src1_sel:DWORD
	v_lshrrev_b16_e32 v8, 10, v8
	v_mul_lo_u16_e32 v8, 13, v8
	v_sub_u16_e32 v89, v88, v8
	v_lshlrev_b16_e32 v8, 2, v89
	v_and_b32_e32 v8, 0xfc, v8
	v_lshl_add_u64 v[104:105], v[184:185], 0, 39
	v_lshlrev_b32_e32 v100, 6, v184
	v_lshlrev_b32_e32 v8, 4, v8
	v_mul_lo_u16_sdwa v9, v104, s8 dst_sel:DWORD dst_unused:UNUSED_PAD src0_sel:BYTE_0 src1_sel:DWORD
	s_waitcnt lgkmcnt(0)
	; wave barrier
	s_waitcnt lgkmcnt(0)
	global_load_dwordx4 v[148:151], v100, s[0:1]
	global_load_dwordx4 v[144:147], v100, s[0:1] offset:16
	global_load_dwordx4 v[140:143], v100, s[0:1] offset:32
	;; [unrolled: 1-line block ×3, first 2 shown]
	ds_read_b128 v[4:7], v116
	ds_read_b128 v[0:3], v116 offset:208
	ds_read_b128 v[24:27], v116 offset:2080
	;; [unrolled: 1-line block ×3, first 2 shown]
	global_load_dwordx4 v[110:113], v8, s[0:1] offset:16
	global_load_dwordx4 v[156:159], v8, s[0:1]
	ds_read_b128 v[28:31], v116 offset:4160
	ds_read_b128 v[32:35], v116 offset:4368
	;; [unrolled: 1-line block ×4, first 2 shown]
	global_load_dwordx4 v[164:167], v8, s[0:1] offset:48
	global_load_dwordx4 v[172:175], v8, s[0:1] offset:32
	v_lshrrev_b16_e32 v8, 10, v9
	v_mul_lo_u16_e32 v8, 13, v8
	v_sub_u16_e32 v101, v104, v8
	v_lshlrev_b16_e32 v8, 2, v101
	v_and_b32_e32 v8, 0xfc, v8
	v_lshl_add_u64 v[120:121], v[184:185], 0, 52
	v_lshlrev_b32_e32 v16, 4, v8
	v_mul_lo_u16_sdwa v17, v120, s8 dst_sel:DWORD dst_unused:UNUSED_PAD src0_sel:BYTE_0 src1_sel:DWORD
	global_load_dwordx4 v[160:163], v16, s[0:1] offset:16
	global_load_dwordx4 v[168:171], v16, s[0:1]
	ds_read_b128 v[48:51], v116 offset:3328
	ds_read_b128 v[72:75], v116 offset:3536
	;; [unrolled: 1-line block ×4, first 2 shown]
	global_load_dwordx4 v[180:183], v16, s[0:1] offset:48
	global_load_dwordx4 v[188:191], v16, s[0:1] offset:32
	v_lshrrev_b16_e32 v16, 10, v17
	v_mul_lo_u16_e32 v16, 13, v16
	v_sub_u16_e32 v102, v120, v16
	v_lshlrev_b16_e32 v16, 2, v102
	v_and_b32_e32 v16, 0xfc, v16
	v_lshlrev_b32_e32 v52, 4, v16
	global_load_dwordx4 v[176:179], v52, s[0:1] offset:16
	v_accvgpr_write_b32 a130, v184
	global_load_dwordx4 v[184:187], v52, s[0:1]
	ds_read_b128 v[76:79], v116 offset:2496
	ds_read_b128 v[90:93], v116 offset:2704
	;; [unrolled: 1-line block ×6, first 2 shown]
	global_load_dwordx4 v[192:195], v52, s[0:1] offset:48
	global_load_dwordx4 v[196:199], v52, s[0:1] offset:32
	ds_read_b128 v[84:87], v116 offset:1664
	ds_read_b128 v[106:109], v116 offset:1872
	;; [unrolled: 1-line block ×7, first 2 shown]
	s_mov_b32 s8, 0x134454ff
	s_mov_b32 s9, 0x3fee6f0e
	;; [unrolled: 1-line block ×10, first 2 shown]
	s_waitcnt lgkmcnt(0)
	; wave barrier
	s_waitcnt vmcnt(15) lgkmcnt(0)
	v_mul_f64 v[68:69], v[44:45], v[150:151]
	s_waitcnt vmcnt(14)
	v_mul_f64 v[58:59], v[26:27], v[146:147]
	v_mul_f64 v[210:211], v[24:25], v[146:147]
	s_waitcnt vmcnt(13)
	v_mul_f64 v[212:213], v[52:53], v[142:143]
	v_fma_f64 v[214:215], v[24:25], v[144:145], -v[58:59]
	v_mul_f64 v[24:25], v[38:39], v[150:151]
	v_mul_f64 v[60:61], v[54:55], v[142:143]
	v_fmac_f64_e32 v[212:213], v[54:55], v[140:141]
	v_fma_f64 v[54:55], v[36:37], v[148:149], -v[24:25]
	v_mul_f64 v[24:25], v[22:23], v[146:147]
	v_mul_f64 v[56:57], v[46:47], v[150:151]
	v_fmac_f64_e32 v[68:69], v[46:47], v[148:149]
	v_fma_f64 v[58:59], v[20:21], v[144:145], -v[24:25]
	v_mul_f64 v[46:47], v[20:21], v[146:147]
	v_mul_f64 v[20:21], v[50:51], v[142:143]
	v_fma_f64 v[64:65], v[48:49], v[140:141], -v[20:21]
	s_waitcnt vmcnt(12)
	v_mul_f64 v[20:21], v[34:35], v[138:139]
	v_fma_f64 v[220:221], v[32:33], v[136:137], -v[20:21]
	s_waitcnt vmcnt(10)
	v_mul_f64 v[20:21], v[42:43], v[158:159]
	v_fma_f64 v[66:67], v[40:41], v[156:157], -v[20:21]
	v_mul_f64 v[20:21], v[78:79], v[112:113]
	v_fma_f64 v[52:53], v[52:53], v[140:141], -v[60:61]
	;; [unrolled: 2-line block ×3, first 2 shown]
	s_waitcnt vmcnt(8)
	v_mul_f64 v[20:21], v[74:75], v[174:175]
	v_fmac_f64_e32 v[60:61], v[50:51], v[140:141]
	v_mul_f64 v[50:51], v[76:77], v[112:113]
	v_fma_f64 v[76:77], v[72:73], v[172:173], -v[20:21]
	v_mul_f64 v[72:73], v[72:73], v[174:175]
	v_mul_f64 v[20:21], v[82:83], v[166:167]
	v_accvgpr_write_b32 a129, v113
	v_fmac_f64_e32 v[50:51], v[78:79], v[110:111]
	v_fmac_f64_e32 v[72:73], v[74:75], v[172:173]
	v_fma_f64 v[78:79], v[80:81], v[164:165], -v[20:21]
	v_mul_f64 v[74:75], v[80:81], v[166:167]
	s_waitcnt vmcnt(6)
	v_mul_f64 v[20:21], v[86:87], v[170:171]
	v_accvgpr_write_b32 a128, v112
	v_accvgpr_write_b32 a127, v111
	v_accvgpr_write_b32 a126, v110
	v_fmac_f64_e32 v[74:75], v[82:83], v[164:165]
	v_fma_f64 v[82:83], v[84:85], v[168:169], -v[20:21]
	v_mul_f64 v[112:113], v[84:85], v[170:171]
	v_mul_f64 v[20:21], v[92:93], v[162:163]
	v_fmac_f64_e32 v[112:113], v[86:87], v[168:169]
	v_fma_f64 v[86:87], v[90:91], v[160:161], -v[20:21]
	s_waitcnt vmcnt(4)
	v_mul_f64 v[20:21], v[134:135], v[190:191]
	v_fma_f64 v[124:125], v[132:133], v[188:189], -v[20:21]
	v_mul_f64 v[20:21], v[96:97], v[182:183]
	v_fma_f64 v[126:127], v[94:95], v[180:181], -v[20:21]
	s_waitcnt vmcnt(2)
	v_mul_f64 v[20:21], v[108:109], v[186:187]
	v_fma_f64 v[98:99], v[106:107], v[184:185], -v[20:21]
	v_mul_f64 v[20:21], v[130:131], v[178:179]
	v_mul_f64 v[114:115], v[90:91], v[162:163]
	;; [unrolled: 1-line block ×3, first 2 shown]
	v_fma_f64 v[106:107], v[128:129], v[176:177], -v[20:21]
	s_waitcnt vmcnt(0)
	v_mul_f64 v[20:21], v[204:205], v[198:199]
	v_fma_f64 v[56:57], v[44:45], v[148:149], -v[56:57]
	v_fmac_f64_e32 v[90:91], v[108:109], v[184:185]
	v_fma_f64 v[108:109], v[202:203], v[196:197], -v[20:21]
	v_mul_f64 v[20:21], v[208:209], v[194:195]
	v_fma_f64 v[110:111], v[206:207], v[192:193], -v[20:21]
	v_add_f64 v[20:21], v[4:5], v[56:57]
	v_mul_f64 v[62:63], v[30:31], v[138:139]
	v_add_f64 v[20:21], v[20:21], v[214:215]
	v_fma_f64 v[216:217], v[28:29], v[136:137], -v[62:63]
	v_mul_f64 v[218:219], v[28:29], v[138:139]
	v_add_f64 v[20:21], v[20:21], v[52:53]
	v_fmac_f64_e32 v[218:219], v[30:31], v[136:137]
	v_add_f64 v[24:25], v[20:21], v[216:217]
	v_add_f64 v[20:21], v[214:215], v[52:53]
	v_fmac_f64_e32 v[210:211], v[26:27], v[144:145]
	v_fmac_f64_e32 v[46:47], v[22:23], v[144:145]
	v_fma_f64 v[20:21], -0.5, v[20:21], v[4:5]
	v_add_f64 v[22:23], v[68:69], -v[218:219]
	v_mul_f64 v[62:63], v[32:33], v[138:139]
	v_fma_f64 v[28:29], s[8:9], v[22:23], v[20:21]
	v_add_f64 v[26:27], v[210:211], -v[212:213]
	v_add_f64 v[30:31], v[56:57], -v[214:215]
	;; [unrolled: 1-line block ×3, first 2 shown]
	v_fmac_f64_e32 v[20:21], s[16:17], v[22:23]
	v_fmac_f64_e32 v[28:29], s[12:13], v[26:27]
	v_add_f64 v[30:31], v[30:31], v[32:33]
	v_fmac_f64_e32 v[20:21], s[18:19], v[26:27]
	v_fmac_f64_e32 v[28:29], s[14:15], v[30:31]
	;; [unrolled: 1-line block ×3, first 2 shown]
	v_add_f64 v[30:31], v[56:57], v[216:217]
	v_fmac_f64_e32 v[4:5], -0.5, v[30:31]
	v_fma_f64 v[32:33], s[16:17], v[26:27], v[4:5]
	v_fmac_f64_e32 v[4:5], s[8:9], v[26:27]
	v_fmac_f64_e32 v[32:33], s[12:13], v[22:23]
	;; [unrolled: 1-line block ×3, first 2 shown]
	v_add_f64 v[22:23], v[6:7], v[68:69]
	v_add_f64 v[22:23], v[22:23], v[210:211]
	v_add_f64 v[22:23], v[22:23], v[212:213]
	v_fmac_f64_e32 v[62:63], v[34:35], v[136:137]
	v_add_f64 v[30:31], v[214:215], -v[56:57]
	v_add_f64 v[34:35], v[52:53], -v[216:217]
	v_add_f64 v[26:27], v[22:23], v[218:219]
	v_add_f64 v[22:23], v[210:211], v[212:213]
	v_mul_f64 v[44:45], v[36:37], v[150:151]
	v_add_f64 v[30:31], v[30:31], v[34:35]
	v_fma_f64 v[22:23], -0.5, v[22:23], v[6:7]
	v_add_f64 v[36:37], v[56:57], -v[216:217]
	v_fmac_f64_e32 v[44:45], v[38:39], v[148:149]
	v_mul_f64 v[48:49], v[40:41], v[158:159]
	v_fmac_f64_e32 v[32:33], s[14:15], v[30:31]
	v_fmac_f64_e32 v[4:5], s[14:15], v[30:31]
	v_fma_f64 v[30:31], s[16:17], v[36:37], v[22:23]
	v_add_f64 v[38:39], v[214:215], -v[52:53]
	v_add_f64 v[34:35], v[68:69], -v[210:211]
	;; [unrolled: 1-line block ×3, first 2 shown]
	v_fmac_f64_e32 v[22:23], s[8:9], v[36:37]
	v_fmac_f64_e32 v[30:31], s[18:19], v[38:39]
	v_add_f64 v[34:35], v[34:35], v[40:41]
	v_fmac_f64_e32 v[22:23], s[12:13], v[38:39]
	v_fmac_f64_e32 v[30:31], s[14:15], v[34:35]
	;; [unrolled: 1-line block ×3, first 2 shown]
	v_add_f64 v[34:35], v[68:69], v[218:219]
	v_fmac_f64_e32 v[6:7], -0.5, v[34:35]
	v_fma_f64 v[34:35], s[8:9], v[38:39], v[6:7]
	v_fmac_f64_e32 v[6:7], s[16:17], v[38:39]
	v_fmac_f64_e32 v[34:35], s[18:19], v[36:37]
	;; [unrolled: 1-line block ×3, first 2 shown]
	v_add_f64 v[36:37], v[0:1], v[54:55]
	v_fmac_f64_e32 v[48:49], v[42:43], v[156:157]
	v_add_f64 v[40:41], v[210:211], -v[68:69]
	v_add_f64 v[42:43], v[212:213], -v[218:219]
	v_add_f64 v[36:37], v[36:37], v[58:59]
	v_add_f64 v[40:41], v[40:41], v[42:43]
	;; [unrolled: 1-line block ×3, first 2 shown]
	v_fmac_f64_e32 v[34:35], s[14:15], v[40:41]
	v_fmac_f64_e32 v[6:7], s[14:15], v[40:41]
	v_add_f64 v[40:41], v[36:37], v[220:221]
	v_add_f64 v[36:37], v[58:59], v[64:65]
	v_fma_f64 v[36:37], -0.5, v[36:37], v[0:1]
	v_add_f64 v[38:39], v[44:45], -v[62:63]
	v_fma_f64 v[52:53], s[8:9], v[38:39], v[36:37]
	v_add_f64 v[42:43], v[46:47], -v[60:61]
	v_add_f64 v[56:57], v[54:55], -v[58:59]
	;; [unrolled: 1-line block ×3, first 2 shown]
	v_fmac_f64_e32 v[36:37], s[16:17], v[38:39]
	v_fmac_f64_e32 v[52:53], s[12:13], v[42:43]
	v_add_f64 v[56:57], v[56:57], v[68:69]
	v_fmac_f64_e32 v[36:37], s[18:19], v[42:43]
	v_fmac_f64_e32 v[52:53], s[14:15], v[56:57]
	;; [unrolled: 1-line block ×3, first 2 shown]
	v_add_f64 v[56:57], v[54:55], v[220:221]
	v_fmac_f64_e32 v[0:1], -0.5, v[56:57]
	v_fma_f64 v[56:57], s[16:17], v[42:43], v[0:1]
	v_fmac_f64_e32 v[0:1], s[8:9], v[42:43]
	v_fmac_f64_e32 v[56:57], s[12:13], v[38:39]
	v_fmac_f64_e32 v[0:1], s[18:19], v[38:39]
	v_add_f64 v[38:39], v[2:3], v[44:45]
	v_add_f64 v[38:39], v[38:39], v[46:47]
	v_add_f64 v[68:69], v[58:59], -v[54:55]
	v_add_f64 v[80:81], v[64:65], -v[220:221]
	v_add_f64 v[38:39], v[38:39], v[60:61]
	v_add_f64 v[68:69], v[68:69], v[80:81]
	;; [unrolled: 1-line block ×4, first 2 shown]
	v_fmac_f64_e32 v[56:57], s[14:15], v[68:69]
	v_fmac_f64_e32 v[0:1], s[14:15], v[68:69]
	v_fma_f64 v[38:39], -0.5, v[38:39], v[2:3]
	v_add_f64 v[68:69], v[54:55], -v[220:221]
	v_fma_f64 v[54:55], s[16:17], v[68:69], v[38:39]
	v_add_f64 v[64:65], v[58:59], -v[64:65]
	v_add_f64 v[58:59], v[44:45], -v[46:47]
	;; [unrolled: 1-line block ×3, first 2 shown]
	v_fmac_f64_e32 v[38:39], s[8:9], v[68:69]
	v_fmac_f64_e32 v[54:55], s[18:19], v[64:65]
	v_add_f64 v[58:59], v[58:59], v[80:81]
	v_fmac_f64_e32 v[38:39], s[12:13], v[64:65]
	v_fmac_f64_e32 v[54:55], s[14:15], v[58:59]
	;; [unrolled: 1-line block ×3, first 2 shown]
	v_add_f64 v[58:59], v[44:45], v[62:63]
	v_fmac_f64_e32 v[2:3], -0.5, v[58:59]
	v_fma_f64 v[58:59], s[8:9], v[64:65], v[2:3]
	v_add_f64 v[44:45], v[46:47], -v[44:45]
	v_add_f64 v[46:47], v[60:61], -v[62:63]
	v_fmac_f64_e32 v[2:3], s[16:17], v[64:65]
	v_fmac_f64_e32 v[58:59], s[18:19], v[68:69]
	v_add_f64 v[44:45], v[44:45], v[46:47]
	v_fmac_f64_e32 v[2:3], s[12:13], v[68:69]
	v_fmac_f64_e32 v[58:59], s[14:15], v[44:45]
	;; [unrolled: 1-line block ×3, first 2 shown]
	v_add_f64 v[44:45], v[12:13], v[66:67]
	v_add_f64 v[44:45], v[44:45], v[70:71]
	;; [unrolled: 1-line block ×5, first 2 shown]
	v_fma_f64 v[44:45], -0.5, v[44:45], v[12:13]
	v_add_f64 v[46:47], v[48:49], -v[74:75]
	v_fma_f64 v[64:65], s[8:9], v[46:47], v[44:45]
	v_add_f64 v[62:63], v[50:51], -v[72:73]
	v_add_f64 v[68:69], v[66:67], -v[70:71]
	;; [unrolled: 1-line block ×3, first 2 shown]
	v_fmac_f64_e32 v[44:45], s[16:17], v[46:47]
	v_fmac_f64_e32 v[64:65], s[12:13], v[62:63]
	v_add_f64 v[68:69], v[68:69], v[80:81]
	v_fmac_f64_e32 v[44:45], s[18:19], v[62:63]
	v_fmac_f64_e32 v[64:65], s[14:15], v[68:69]
	v_fmac_f64_e32 v[44:45], s[14:15], v[68:69]
	v_add_f64 v[68:69], v[66:67], v[78:79]
	v_fmac_f64_e32 v[12:13], -0.5, v[68:69]
	v_fma_f64 v[68:69], s[16:17], v[62:63], v[12:13]
	v_fmac_f64_e32 v[12:13], s[8:9], v[62:63]
	v_fmac_f64_e32 v[68:69], s[12:13], v[46:47]
	;; [unrolled: 1-line block ×3, first 2 shown]
	v_add_f64 v[46:47], v[14:15], v[48:49]
	v_add_f64 v[46:47], v[46:47], v[50:51]
	v_add_f64 v[46:47], v[46:47], v[72:73]
	v_add_f64 v[80:81], v[70:71], -v[66:67]
	v_add_f64 v[84:85], v[76:77], -v[78:79]
	v_add_f64 v[62:63], v[46:47], v[74:75]
	v_add_f64 v[46:47], v[50:51], v[72:73]
	;; [unrolled: 1-line block ×3, first 2 shown]
	v_fma_f64 v[46:47], -0.5, v[46:47], v[14:15]
	v_add_f64 v[78:79], v[66:67], -v[78:79]
	v_fmac_f64_e32 v[68:69], s[14:15], v[80:81]
	v_fmac_f64_e32 v[12:13], s[14:15], v[80:81]
	v_fma_f64 v[66:67], s[16:17], v[78:79], v[46:47]
	v_add_f64 v[76:77], v[70:71], -v[76:77]
	v_add_f64 v[70:71], v[48:49], -v[50:51]
	;; [unrolled: 1-line block ×3, first 2 shown]
	v_fmac_f64_e32 v[46:47], s[8:9], v[78:79]
	v_fmac_f64_e32 v[66:67], s[18:19], v[76:77]
	v_add_f64 v[70:71], v[70:71], v[80:81]
	v_fmac_f64_e32 v[46:47], s[12:13], v[76:77]
	v_fmac_f64_e32 v[66:67], s[14:15], v[70:71]
	;; [unrolled: 1-line block ×3, first 2 shown]
	v_add_f64 v[70:71], v[48:49], v[74:75]
	v_fmac_f64_e32 v[14:15], -0.5, v[70:71]
	v_fma_f64 v[70:71], s[8:9], v[76:77], v[14:15]
	v_add_f64 v[48:49], v[50:51], -v[48:49]
	v_add_f64 v[50:51], v[72:73], -v[74:75]
	v_fmac_f64_e32 v[14:15], s[16:17], v[76:77]
	v_fmac_f64_e32 v[70:71], s[18:19], v[78:79]
	v_add_f64 v[48:49], v[48:49], v[50:51]
	v_fmac_f64_e32 v[14:15], s[12:13], v[78:79]
	v_fmac_f64_e32 v[70:71], s[14:15], v[48:49]
	;; [unrolled: 1-line block ×3, first 2 shown]
	v_add_f64 v[48:49], v[8:9], v[82:83]
	v_add_f64 v[48:49], v[48:49], v[86:87]
	v_mul_f64 v[122:123], v[94:95], v[182:183]
	v_add_f64 v[48:49], v[48:49], v[124:125]
	v_mul_f64 v[118:119], v[132:133], v[190:191]
	v_fmac_f64_e32 v[122:123], v[96:97], v[180:181]
	v_add_f64 v[76:77], v[48:49], v[126:127]
	v_add_f64 v[48:49], v[86:87], v[124:125]
	v_fmac_f64_e32 v[114:115], v[92:93], v[160:161]
	v_fmac_f64_e32 v[118:119], v[134:135], v[188:189]
	v_fma_f64 v[72:73], -0.5, v[48:49], v[8:9]
	v_add_f64 v[48:49], v[112:113], -v[122:123]
	v_fma_f64 v[80:81], s[8:9], v[48:49], v[72:73]
	v_add_f64 v[50:51], v[114:115], -v[118:119]
	v_add_f64 v[74:75], v[82:83], -v[86:87]
	;; [unrolled: 1-line block ×3, first 2 shown]
	v_fmac_f64_e32 v[72:73], s[16:17], v[48:49]
	v_fmac_f64_e32 v[80:81], s[12:13], v[50:51]
	v_add_f64 v[74:75], v[74:75], v[78:79]
	v_fmac_f64_e32 v[72:73], s[18:19], v[50:51]
	v_fmac_f64_e32 v[80:81], s[14:15], v[74:75]
	v_fmac_f64_e32 v[72:73], s[14:15], v[74:75]
	v_add_f64 v[74:75], v[82:83], v[126:127]
	v_fmac_f64_e32 v[8:9], -0.5, v[74:75]
	v_fma_f64 v[84:85], s[16:17], v[50:51], v[8:9]
	v_fmac_f64_e32 v[8:9], s[8:9], v[50:51]
	v_fmac_f64_e32 v[84:85], s[12:13], v[48:49]
	;; [unrolled: 1-line block ×3, first 2 shown]
	v_add_f64 v[48:49], v[10:11], v[112:113]
	v_add_f64 v[48:49], v[48:49], v[114:115]
	v_add_f64 v[74:75], v[86:87], -v[82:83]
	v_add_f64 v[78:79], v[124:125], -v[126:127]
	v_add_f64 v[48:49], v[48:49], v[118:119]
	v_add_f64 v[74:75], v[74:75], v[78:79]
	;; [unrolled: 1-line block ×4, first 2 shown]
	v_fmac_f64_e32 v[84:85], s[14:15], v[74:75]
	v_fmac_f64_e32 v[8:9], s[14:15], v[74:75]
	v_fma_f64 v[74:75], -0.5, v[48:49], v[10:11]
	v_add_f64 v[48:49], v[82:83], -v[126:127]
	v_fma_f64 v[82:83], s[16:17], v[48:49], v[74:75]
	v_add_f64 v[50:51], v[86:87], -v[124:125]
	v_add_f64 v[86:87], v[112:113], -v[114:115]
	;; [unrolled: 1-line block ×3, first 2 shown]
	v_fmac_f64_e32 v[74:75], s[8:9], v[48:49]
	v_fmac_f64_e32 v[82:83], s[18:19], v[50:51]
	v_add_f64 v[86:87], v[86:87], v[124:125]
	v_fmac_f64_e32 v[74:75], s[12:13], v[50:51]
	v_fmac_f64_e32 v[82:83], s[14:15], v[86:87]
	;; [unrolled: 1-line block ×3, first 2 shown]
	v_add_f64 v[86:87], v[112:113], v[122:123]
	v_fmac_f64_e32 v[10:11], -0.5, v[86:87]
	v_mul_f64 v[96:97], v[206:207], v[194:195]
	v_fma_f64 v[86:87], s[8:9], v[50:51], v[10:11]
	v_add_f64 v[112:113], v[114:115], -v[112:113]
	v_add_f64 v[114:115], v[118:119], -v[122:123]
	v_fmac_f64_e32 v[10:11], s[16:17], v[50:51]
	v_mul_f64 v[92:93], v[128:129], v[178:179]
	v_mul_f64 v[94:95], v[202:203], v[198:199]
	v_fmac_f64_e32 v[96:97], v[208:209], v[192:193]
	v_fmac_f64_e32 v[86:87], s[18:19], v[48:49]
	v_add_f64 v[112:113], v[112:113], v[114:115]
	v_fmac_f64_e32 v[10:11], s[12:13], v[48:49]
	v_add_f64 v[50:51], v[106:107], v[108:109]
	v_fmac_f64_e32 v[92:93], v[130:131], v[176:177]
	v_fmac_f64_e32 v[94:95], v[204:205], v[196:197]
	;; [unrolled: 1-line block ×4, first 2 shown]
	v_fma_f64 v[112:113], -0.5, v[50:51], v[16:17]
	v_add_f64 v[50:51], v[90:91], -v[96:97]
	v_fma_f64 v[122:123], s[8:9], v[50:51], v[112:113]
	v_add_f64 v[114:115], v[92:93], -v[94:95]
	v_add_f64 v[118:119], v[98:99], -v[106:107]
	;; [unrolled: 1-line block ×3, first 2 shown]
	v_fmac_f64_e32 v[112:113], s[16:17], v[50:51]
	v_fmac_f64_e32 v[122:123], s[12:13], v[114:115]
	v_add_f64 v[118:119], v[118:119], v[124:125]
	v_fmac_f64_e32 v[112:113], s[18:19], v[114:115]
	v_fmac_f64_e32 v[122:123], s[14:15], v[118:119]
	;; [unrolled: 1-line block ×3, first 2 shown]
	v_add_f64 v[118:119], v[98:99], v[110:111]
	v_add_f64 v[48:49], v[16:17], v[98:99]
	v_fmac_f64_e32 v[16:17], -0.5, v[118:119]
	v_add_f64 v[48:49], v[48:49], v[106:107]
	v_fma_f64 v[126:127], s[16:17], v[114:115], v[16:17]
	v_fmac_f64_e32 v[16:17], s[8:9], v[114:115]
	v_add_f64 v[114:115], v[92:93], v[94:95]
	v_add_f64 v[48:49], v[48:49], v[108:109]
	v_add_f64 v[118:119], v[106:107], -v[98:99]
	v_add_f64 v[124:125], v[108:109], -v[110:111]
	v_fma_f64 v[114:115], -0.5, v[114:115], v[18:19]
	v_add_f64 v[98:99], v[98:99], -v[110:111]
	v_add_f64 v[48:49], v[48:49], v[110:111]
	v_fmac_f64_e32 v[126:127], s[12:13], v[50:51]
	v_add_f64 v[118:119], v[118:119], v[124:125]
	v_fmac_f64_e32 v[16:17], s[18:19], v[50:51]
	v_add_f64 v[50:51], v[18:19], v[90:91]
	v_fma_f64 v[124:125], s[16:17], v[98:99], v[114:115]
	v_add_f64 v[106:107], v[106:107], -v[108:109]
	v_add_f64 v[108:109], v[90:91], -v[92:93]
	;; [unrolled: 1-line block ×3, first 2 shown]
	v_fmac_f64_e32 v[114:115], s[8:9], v[98:99]
	v_add_f64 v[50:51], v[50:51], v[92:93]
	v_fmac_f64_e32 v[124:125], s[18:19], v[106:107]
	v_add_f64 v[108:109], v[108:109], v[110:111]
	;; [unrolled: 2-line block ×3, first 2 shown]
	v_fmac_f64_e32 v[124:125], s[14:15], v[108:109]
	v_fmac_f64_e32 v[114:115], s[14:15], v[108:109]
	v_add_f64 v[108:109], v[90:91], v[96:97]
	ds_write_b128 v116, v[24:27]
	ds_write_b128 v116, v[28:31] offset:208
	ds_write_b128 v116, v[32:35] offset:416
	;; [unrolled: 1-line block ×9, first 2 shown]
	v_and_b32_e32 v0, 0xff, v89
	v_add_f64 v[50:51], v[50:51], v[96:97]
	v_fmac_f64_e32 v[18:19], -0.5, v[108:109]
	v_add_f64 v[90:91], v[92:93], -v[90:91]
	v_add_f64 v[92:93], v[94:95], -v[96:97]
	v_lshl_add_u32 v96, v0, 4, v222
	v_and_b32_e32 v0, 0xff, v101
	v_fma_f64 v[128:129], s[8:9], v[106:107], v[18:19]
	v_fmac_f64_e32 v[18:19], s[16:17], v[106:107]
	v_lshl_add_u32 v97, v0, 4, v222
	v_and_b32_e32 v0, 0xff, v102
	v_fmac_f64_e32 v[128:129], s[18:19], v[98:99]
	v_add_f64 v[90:91], v[90:91], v[92:93]
	v_fmac_f64_e32 v[18:19], s[12:13], v[98:99]
	v_lshl_add_u32 v98, v0, 4, v222
	v_fmac_f64_e32 v[126:127], s[14:15], v[118:119]
	v_fmac_f64_e32 v[16:17], s[14:15], v[118:119]
	;; [unrolled: 1-line block ×4, first 2 shown]
	ds_write_b128 v96, v[60:63] offset:2080
	ds_write_b128 v96, v[64:67] offset:2288
	;; [unrolled: 1-line block ×15, first 2 shown]
	s_waitcnt lgkmcnt(0)
	; wave barrier
	s_waitcnt lgkmcnt(0)
	global_load_dwordx4 v[66:69], v100, s[0:1] offset:832
	global_load_dwordx4 v[70:73], v100, s[0:1] offset:848
	global_load_dwordx4 v[74:77], v100, s[0:1] offset:864
	global_load_dwordx4 v[108:111], v100, s[0:1] offset:880
	v_lshlrev_b32_e32 v0, 6, v200
	global_load_dwordx4 v[216:219], v0, s[0:1] offset:832
	global_load_dwordx4 v[112:115], v0, s[0:1] offset:848
	global_load_dwordx4 v[90:93], v0, s[0:1] offset:864
	global_load_dwordx4 v[78:81], v0, s[0:1] offset:880
	v_lshlrev_b32_e32 v0, 6, v88
	;; [unrolled: 5-line block ×3, first 2 shown]
	global_load_dwordx4 v[126:129], v8, s[0:1] offset:832
	global_load_dwordx4 v[122:125], v8, s[0:1] offset:848
	v_lshlrev_b32_e32 v52, 6, v120
	ds_read_b128 v[252:255], v116
	ds_read_b128 v[248:251], v116 offset:208
	ds_read_b128 v[0:3], v116 offset:2080
	ds_read_b128 v[4:7], v116 offset:2288
	global_load_dwordx4 v[104:107], v8, s[0:1] offset:880
	global_load_dwordx4 a[106:109], v8, s[0:1] offset:864
	ds_read_b128 v[8:11], v116 offset:4160
	ds_read_b128 v[12:15], v116 offset:4368
	ds_read_b128 v[16:19], v116 offset:1248
	ds_read_b128 v[20:23], v116 offset:1456
	ds_read_b128 v[24:27], v116 offset:3328
	ds_read_b128 v[32:35], v116 offset:3536
	global_load_dwordx4 a[118:121], v52, s[0:1] offset:848
	global_load_dwordx4 v[152:155], v52, s[0:1] offset:832
	ds_read_b128 v[36:39], v116 offset:2496
	ds_read_b128 v[40:43], v116 offset:2704
	ds_read_b128 v[44:47], v116 offset:4576
	;; [unrolled: 8-line block ×3, first 2 shown]
	ds_read_b128 v[208:211], v116 offset:2912
	ds_read_b128 v[100:103], v116 offset:3744
	;; [unrolled: 1-line block ×4, first 2 shown]
	s_movk_i32 s0, 0x1000
	s_waitcnt vmcnt(19) lgkmcnt(8)
	v_mul_f64 v[60:61], v[30:31], v[68:69]
	v_fma_f64 v[64:65], v[28:29], v[66:67], -v[60:61]
	v_mul_f64 v[28:29], v[28:29], v[68:69]
	v_accvgpr_write_b32 a73, v69
	v_fmac_f64_e32 v[28:29], v[30:31], v[66:67]
	s_waitcnt vmcnt(18)
	v_mul_f64 v[30:31], v[2:3], v[72:73]
	v_accvgpr_write_b32 a72, v68
	v_accvgpr_write_b32 a71, v67
	;; [unrolled: 1-line block ×3, first 2 shown]
	v_fma_f64 v[66:67], v[0:1], v[70:71], -v[30:31]
	v_mul_f64 v[68:69], v[0:1], v[72:73]
	v_accvgpr_write_b32 a66, v70
	s_waitcnt vmcnt(17) lgkmcnt(4)
	v_mul_f64 v[0:1], v[58:59], v[76:77]
	v_accvgpr_write_b32 a67, v71
	v_accvgpr_write_b32 a68, v72
	;; [unrolled: 1-line block ×3, first 2 shown]
	v_fmac_f64_e32 v[68:69], v[2:3], v[70:71]
	v_fma_f64 v[70:71], v[56:57], v[74:75], -v[0:1]
	v_mul_f64 v[72:73], v[56:57], v[76:77]
	v_accvgpr_write_b32 a62, v74
	s_waitcnt vmcnt(16)
	v_mul_f64 v[0:1], v[10:11], v[110:111]
	v_accvgpr_write_b32 a63, v75
	v_accvgpr_write_b32 a64, v76
	v_accvgpr_write_b32 a65, v77
	v_fmac_f64_e32 v[72:73], v[58:59], v[74:75]
	v_fma_f64 v[74:75], v[8:9], v[108:109], -v[0:1]
	s_waitcnt vmcnt(15)
	v_mul_f64 v[0:1], v[18:19], v[218:219]
	v_fma_f64 v[240:241], v[16:17], v[216:217], -v[0:1]
	v_mul_f64 v[242:243], v[16:17], v[218:219]
	s_waitcnt vmcnt(14)
	v_mul_f64 v[0:1], v[6:7], v[114:115]
	v_fmac_f64_e32 v[242:243], v[18:19], v[216:217]
	v_fma_f64 v[18:19], v[4:5], v[112:113], -v[0:1]
	s_waitcnt vmcnt(13)
	v_mul_f64 v[0:1], v[26:27], v[92:93]
	v_fma_f64 v[246:247], v[24:25], v[90:91], -v[0:1]
	s_waitcnt vmcnt(12)
	v_mul_f64 v[0:1], v[14:15], v[80:81]
	v_mul_f64 v[24:25], v[24:25], v[92:93]
	v_fma_f64 v[118:119], v[12:13], v[78:79], -v[0:1]
	s_waitcnt vmcnt(11)
	v_mul_f64 v[0:1], v[22:23], v[226:227]
	v_fmac_f64_e32 v[24:25], v[26:27], v[90:91]
	v_fma_f64 v[26:27], v[20:21], v[224:225], -v[0:1]
	v_mul_f64 v[30:31], v[20:21], v[226:227]
	v_accvgpr_write_b32 a102, v224
	s_waitcnt vmcnt(10)
	v_mul_f64 v[0:1], v[38:39], v[88:89]
	v_accvgpr_write_b32 a103, v225
	v_accvgpr_write_b32 a104, v226
	;; [unrolled: 1-line block ×3, first 2 shown]
	v_fmac_f64_e32 v[30:31], v[22:23], v[224:225]
	v_fma_f64 v[224:225], v[36:37], v[86:87], -v[0:1]
	s_waitcnt vmcnt(9)
	v_mul_f64 v[0:1], v[34:35], v[84:85]
	v_fma_f64 v[228:229], v[32:33], v[82:83], -v[0:1]
	s_waitcnt vmcnt(8)
	v_mul_f64 v[0:1], v[46:47], v[234:235]
	s_waitcnt vmcnt(7)
	v_accvgpr_write_b32 a114, v126
	v_accvgpr_write_b32 a86, v216
	v_fma_f64 v[230:231], v[44:45], v[232:233], -v[0:1]
	v_mul_f64 v[0:1], v[54:55], v[128:129]
	v_mul_f64 v[56:57], v[52:53], v[128:129]
	v_accvgpr_write_b32 a115, v127
	v_accvgpr_write_b32 a116, v128
	;; [unrolled: 1-line block ×3, first 2 shown]
	s_waitcnt vmcnt(1)
	v_accvgpr_read_b32 v131, a113
	v_accvgpr_write_b32 a87, v217
	v_accvgpr_write_b32 a88, v218
	;; [unrolled: 1-line block ×3, first 2 shown]
	v_fma_f64 v[218:219], v[52:53], v[126:127], -v[0:1]
	v_accvgpr_read_b32 v130, a112
	v_accvgpr_read_b32 v129, a111
	;; [unrolled: 1-line block ×3, first 2 shown]
	v_mul_f64 v[0:1], v[42:43], v[124:125]
	v_mul_f64 v[60:61], v[40:41], v[124:125]
	v_accvgpr_write_b32 a110, v122
	v_fma_f64 v[226:227], v[40:41], v[122:123], -v[0:1]
	v_accvgpr_write_b32 a111, v123
	v_accvgpr_write_b32 a112, v124
	;; [unrolled: 1-line block ×3, first 2 shown]
	v_fmac_f64_e32 v[60:61], v[42:43], v[122:123]
	v_accvgpr_read_b32 v123, a109
	v_mul_f64 v[76:77], v[12:13], v[80:81]
	v_accvgpr_write_b32 a74, v78
	v_accvgpr_read_b32 v122, a108
	v_accvgpr_write_b32 a75, v79
	v_accvgpr_write_b32 a76, v80
	;; [unrolled: 1-line block ×3, first 2 shown]
	v_fmac_f64_e32 v[76:77], v[14:15], v[78:79]
	v_mov_b32_e32 v78, v222
	v_mul_f64 v[222:223], v[44:45], v[234:235]
	v_accvgpr_write_b32 a90, v232
	v_accvgpr_read_b32 v121, a107
	v_accvgpr_read_b32 v120, a106
	s_waitcnt lgkmcnt(2)
	v_mul_f64 v[0:1], v[102:103], v[122:123]
	v_accvgpr_write_b32 a91, v233
	v_accvgpr_write_b32 a92, v234
	;; [unrolled: 1-line block ×3, first 2 shown]
	v_fmac_f64_e32 v[222:223], v[46:47], v[232:233]
	v_fmac_f64_e32 v[56:57], v[54:55], v[126:127]
	v_accvgpr_read_b32 v127, a121
	v_fma_f64 v[232:233], v[100:101], v[120:121], -v[0:1]
	v_mul_f64 v[62:63], v[100:101], v[122:123]
	v_mul_f64 v[0:1], v[50:51], v[106:107]
	v_accvgpr_read_b32 v126, a120
	v_fmac_f64_e32 v[62:63], v[102:103], v[120:121]
	v_fma_f64 v[234:235], v[48:49], v[104:105], -v[0:1]
	v_mul_f64 v[102:103], v[48:49], v[106:107]
	v_mul_f64 v[0:1], v[206:207], v[154:155]
	v_accvgpr_read_b32 v125, a119
	v_accvgpr_read_b32 v124, a118
	v_fmac_f64_e32 v[102:103], v[50:51], v[104:105]
	v_fma_f64 v[50:51], v[204:205], v[152:153], -v[0:1]
	v_mul_f64 v[0:1], v[210:211], v[126:127]
	v_fma_f64 v[54:55], v[208:209], v[124:125], -v[0:1]
	s_waitcnt vmcnt(0) lgkmcnt(1)
	v_mul_f64 v[0:1], v[214:215], v[134:135]
	v_mul_f64 v[8:9], v[8:9], v[110:111]
	v_fma_f64 v[58:59], v[212:213], v[132:133], -v[0:1]
	s_waitcnt lgkmcnt(0)
	v_mul_f64 v[0:1], v[238:239], v[130:131]
	v_fmac_f64_e32 v[8:9], v[10:11], v[108:109]
	v_mul_f64 v[244:245], v[4:5], v[114:115]
	v_fma_f64 v[100:101], v[236:237], v[128:129], -v[0:1]
	v_add_f64 v[0:1], v[66:67], v[70:71]
	v_fmac_f64_e32 v[244:245], v[6:7], v[112:113]
	v_fma_f64 v[0:1], -0.5, v[0:1], v[252:253]
	v_add_f64 v[6:7], v[28:29], -v[8:9]
	v_mul_f64 v[216:217], v[36:37], v[88:89]
	v_add_f64 v[2:3], v[64:65], -v[66:67]
	v_add_f64 v[4:5], v[74:75], -v[70:71]
	;; [unrolled: 1-line block ×3, first 2 shown]
	v_fma_f64 v[36:37], s[8:9], v[6:7], v[0:1]
	v_fmac_f64_e32 v[0:1], s[16:17], v[6:7]
	v_add_f64 v[2:3], v[2:3], v[4:5]
	v_fmac_f64_e32 v[36:37], s[12:13], v[10:11]
	v_fmac_f64_e32 v[0:1], s[18:19], v[10:11]
	v_add_f64 v[4:5], v[64:65], v[74:75]
	v_fmac_f64_e32 v[36:37], s[14:15], v[2:3]
	v_fmac_f64_e32 v[0:1], s[14:15], v[2:3]
	v_add_f64 v[2:3], v[252:253], v[64:65]
	v_fmac_f64_e32 v[252:253], -0.5, v[4:5]
	v_add_f64 v[4:5], v[66:67], -v[64:65]
	v_add_f64 v[12:13], v[70:71], -v[74:75]
	v_add_f64 v[12:13], v[4:5], v[12:13]
	v_fma_f64 v[4:5], s[16:17], v[10:11], v[252:253]
	v_fmac_f64_e32 v[252:253], s[8:9], v[10:11]
	v_add_f64 v[2:3], v[2:3], v[66:67]
	v_fmac_f64_e32 v[4:5], s[12:13], v[6:7]
	v_fmac_f64_e32 v[252:253], s[18:19], v[6:7]
	v_add_f64 v[2:3], v[2:3], v[70:71]
	v_add_f64 v[6:7], v[254:255], v[28:29]
	;; [unrolled: 1-line block ×6, first 2 shown]
	v_fma_f64 v[2:3], -0.5, v[2:3], v[254:255]
	v_add_f64 v[10:11], v[64:65], -v[74:75]
	v_fmac_f64_e32 v[216:217], v[38:39], v[86:87]
	v_fmac_f64_e32 v[4:5], s[14:15], v[12:13]
	v_fmac_f64_e32 v[252:253], s[14:15], v[12:13]
	v_add_f64 v[42:43], v[6:7], v[8:9]
	v_add_f64 v[12:13], v[66:67], -v[70:71]
	v_add_f64 v[6:7], v[28:29], -v[68:69]
	;; [unrolled: 1-line block ×3, first 2 shown]
	v_fma_f64 v[38:39], s[16:17], v[10:11], v[2:3]
	v_fmac_f64_e32 v[2:3], s[8:9], v[10:11]
	v_add_f64 v[6:7], v[6:7], v[14:15]
	v_fmac_f64_e32 v[38:39], s[18:19], v[12:13]
	v_fmac_f64_e32 v[2:3], s[12:13], v[12:13]
	;; [unrolled: 1-line block ×4, first 2 shown]
	v_add_f64 v[6:7], v[28:29], v[8:9]
	v_fmac_f64_e32 v[254:255], -0.5, v[6:7]
	v_add_f64 v[14:15], v[68:69], -v[28:29]
	v_add_f64 v[8:9], v[72:73], -v[8:9]
	v_fma_f64 v[6:7], s[8:9], v[12:13], v[254:255]
	v_fmac_f64_e32 v[254:255], s[16:17], v[12:13]
	v_fmac_f64_e32 v[6:7], s[18:19], v[10:11]
	v_add_f64 v[8:9], v[14:15], v[8:9]
	v_fmac_f64_e32 v[254:255], s[12:13], v[10:11]
	v_fmac_f64_e32 v[6:7], s[14:15], v[8:9]
	v_fmac_f64_e32 v[254:255], s[14:15], v[8:9]
	v_add_f64 v[8:9], v[18:19], v[246:247]
	v_fma_f64 v[8:9], -0.5, v[8:9], v[248:249]
	v_add_f64 v[10:11], v[240:241], -v[18:19]
	v_add_f64 v[12:13], v[118:119], -v[246:247]
	;; [unrolled: 1-line block ×3, first 2 shown]
	v_add_f64 v[10:11], v[10:11], v[12:13]
	v_add_f64 v[20:21], v[244:245], -v[24:25]
	v_fma_f64 v[12:13], s[8:9], v[14:15], v[8:9]
	v_fmac_f64_e32 v[8:9], s[16:17], v[14:15]
	v_fmac_f64_e32 v[12:13], s[12:13], v[20:21]
	;; [unrolled: 1-line block ×3, first 2 shown]
	v_add_f64 v[16:17], v[240:241], v[118:119]
	v_fmac_f64_e32 v[12:13], s[14:15], v[10:11]
	v_fmac_f64_e32 v[8:9], s[14:15], v[10:11]
	v_add_f64 v[10:11], v[248:249], v[240:241]
	v_fmac_f64_e32 v[248:249], -0.5, v[16:17]
	v_add_f64 v[16:17], v[18:19], -v[240:241]
	v_add_f64 v[22:23], v[246:247], -v[118:119]
	v_add_f64 v[22:23], v[16:17], v[22:23]
	v_fma_f64 v[16:17], s[16:17], v[20:21], v[248:249]
	v_fmac_f64_e32 v[248:249], s[8:9], v[20:21]
	v_fmac_f64_e32 v[16:17], s[12:13], v[14:15]
	;; [unrolled: 1-line block ×3, first 2 shown]
	v_add_f64 v[10:11], v[10:11], v[18:19]
	v_add_f64 v[14:15], v[250:251], v[242:243]
	;; [unrolled: 1-line block ×7, first 2 shown]
	v_mul_f64 v[220:221], v[32:33], v[84:85]
	v_fmac_f64_e32 v[16:17], s[14:15], v[22:23]
	v_fmac_f64_e32 v[248:249], s[14:15], v[22:23]
	v_add_f64 v[22:23], v[14:15], v[76:77]
	v_fma_f64 v[10:11], -0.5, v[10:11], v[250:251]
	v_add_f64 v[28:29], v[240:241], -v[118:119]
	v_add_f64 v[32:33], v[18:19], -v[246:247]
	v_add_f64 v[14:15], v[242:243], -v[244:245]
	v_add_f64 v[18:19], v[76:77], -v[24:25]
	v_add_f64 v[18:19], v[14:15], v[18:19]
	v_fma_f64 v[14:15], s[16:17], v[28:29], v[10:11]
	v_fmac_f64_e32 v[10:11], s[8:9], v[28:29]
	v_fmac_f64_e32 v[14:15], s[18:19], v[32:33]
	;; [unrolled: 1-line block ×3, first 2 shown]
	v_mul_f64 v[44:45], v[204:205], v[154:155]
	v_fmac_f64_e32 v[14:15], s[14:15], v[18:19]
	v_fmac_f64_e32 v[10:11], s[14:15], v[18:19]
	v_add_f64 v[18:19], v[242:243], v[76:77]
	v_fmac_f64_e32 v[44:45], v[206:207], v[152:153]
	v_fmac_f64_e32 v[250:251], -0.5, v[18:19]
	ds_read_b128 v[204:207], v116 offset:416
	v_fmac_f64_e32 v[220:221], v[34:35], v[82:83]
	v_add_f64 v[34:35], v[244:245], -v[242:243]
	v_add_f64 v[24:25], v[24:25], -v[76:77]
	v_fma_f64 v[18:19], s[8:9], v[32:33], v[250:251]
	v_fmac_f64_e32 v[250:251], s[16:17], v[32:33]
	v_fmac_f64_e32 v[18:19], s[18:19], v[28:29]
	v_add_f64 v[24:25], v[34:35], v[24:25]
	v_fmac_f64_e32 v[250:251], s[12:13], v[28:29]
	v_fmac_f64_e32 v[18:19], s[14:15], v[24:25]
	;; [unrolled: 1-line block ×3, first 2 shown]
	v_add_f64 v[24:25], v[26:27], -v[224:225]
	v_add_f64 v[28:29], v[230:231], -v[228:229]
	v_mul_f64 v[48:49], v[212:213], v[134:135]
	v_add_f64 v[28:29], v[24:25], v[28:29]
	v_add_f64 v[24:25], v[224:225], v[228:229]
	v_mul_f64 v[46:47], v[208:209], v[126:127]
	v_fmac_f64_e32 v[48:49], v[214:215], v[132:133]
	ds_read_b128 v[212:215], v116 offset:624
	s_waitcnt lgkmcnt(1)
	v_fma_f64 v[208:209], -0.5, v[24:25], v[204:205]
	v_add_f64 v[32:33], v[30:31], -v[222:223]
	v_add_f64 v[34:35], v[216:217], -v[220:221]
	v_fma_f64 v[24:25], s[8:9], v[32:33], v[208:209]
	v_fmac_f64_e32 v[208:209], s[16:17], v[32:33]
	v_fmac_f64_e32 v[24:25], s[12:13], v[34:35]
	v_fmac_f64_e32 v[208:209], s[18:19], v[34:35]
	v_fmac_f64_e32 v[24:25], s[14:15], v[28:29]
	v_fmac_f64_e32 v[208:209], s[14:15], v[28:29]
	v_add_f64 v[28:29], v[26:27], v[230:231]
	v_add_f64 v[64:65], v[204:205], v[26:27]
	v_fmac_f64_e32 v[204:205], -0.5, v[28:29]
	v_add_f64 v[28:29], v[224:225], -v[26:27]
	v_add_f64 v[66:67], v[228:229], -v[230:231]
	v_add_f64 v[66:67], v[28:29], v[66:67]
	v_fma_f64 v[28:29], s[16:17], v[34:35], v[204:205]
	v_fmac_f64_e32 v[204:205], s[8:9], v[34:35]
	v_fmac_f64_e32 v[28:29], s[12:13], v[32:33]
	;; [unrolled: 1-line block ×3, first 2 shown]
	v_add_f64 v[32:33], v[64:65], v[224:225]
	v_add_f64 v[64:65], v[216:217], v[220:221]
	v_fmac_f64_e32 v[46:47], v[210:211], v[124:125]
	v_fma_f64 v[210:211], -0.5, v[64:65], v[206:207]
	v_add_f64 v[64:65], v[26:27], -v[230:231]
	v_add_f64 v[26:27], v[30:31], -v[216:217]
	;; [unrolled: 1-line block ×3, first 2 shown]
	v_fmac_f64_e32 v[28:29], s[14:15], v[66:67]
	v_fmac_f64_e32 v[204:205], s[14:15], v[66:67]
	v_add_f64 v[66:67], v[224:225], -v[228:229]
	v_add_f64 v[68:69], v[26:27], v[68:69]
	v_fma_f64 v[26:27], s[16:17], v[64:65], v[210:211]
	v_fmac_f64_e32 v[210:211], s[8:9], v[64:65]
	v_fmac_f64_e32 v[26:27], s[18:19], v[66:67]
	;; [unrolled: 1-line block ×5, first 2 shown]
	v_add_f64 v[68:69], v[30:31], v[222:223]
	v_add_f64 v[34:35], v[206:207], v[30:31]
	v_fmac_f64_e32 v[206:207], -0.5, v[68:69]
	v_add_f64 v[30:31], v[216:217], -v[30:31]
	v_add_f64 v[68:69], v[220:221], -v[222:223]
	v_add_f64 v[68:69], v[30:31], v[68:69]
	v_fma_f64 v[30:31], s[8:9], v[66:67], v[206:207]
	v_fmac_f64_e32 v[206:207], s[16:17], v[66:67]
	v_fmac_f64_e32 v[30:31], s[18:19], v[64:65]
	;; [unrolled: 1-line block ×3, first 2 shown]
	v_add_f64 v[64:65], v[218:219], -v[226:227]
	v_add_f64 v[66:67], v[234:235], -v[232:233]
	v_add_f64 v[64:65], v[64:65], v[66:67]
	v_add_f64 v[66:67], v[226:227], v[232:233]
	;; [unrolled: 1-line block ×3, first 2 shown]
	s_waitcnt lgkmcnt(0)
	v_fma_f64 v[228:229], -0.5, v[66:67], v[212:213]
	v_add_f64 v[66:67], v[56:57], -v[102:103]
	v_add_f64 v[34:35], v[34:35], v[216:217]
	v_fmac_f64_e32 v[30:31], s[14:15], v[68:69]
	v_fmac_f64_e32 v[206:207], s[14:15], v[68:69]
	v_add_f64 v[68:69], v[60:61], -v[62:63]
	v_fma_f64 v[216:217], s[8:9], v[66:67], v[228:229]
	v_fmac_f64_e32 v[228:229], s[16:17], v[66:67]
	v_fmac_f64_e32 v[216:217], s[12:13], v[68:69]
	;; [unrolled: 1-line block ×3, first 2 shown]
	v_add_f64 v[70:71], v[218:219], v[234:235]
	v_fmac_f64_e32 v[216:217], s[14:15], v[64:65]
	v_fmac_f64_e32 v[228:229], s[14:15], v[64:65]
	v_add_f64 v[64:65], v[212:213], v[218:219]
	v_fmac_f64_e32 v[212:213], -0.5, v[70:71]
	v_fma_f64 v[224:225], s[16:17], v[68:69], v[212:213]
	v_fmac_f64_e32 v[212:213], s[8:9], v[68:69]
	v_add_f64 v[64:65], v[64:65], v[226:227]
	v_fmac_f64_e32 v[224:225], s[12:13], v[66:67]
	v_fmac_f64_e32 v[212:213], s[18:19], v[66:67]
	v_add_f64 v[64:65], v[64:65], v[232:233]
	v_add_f64 v[66:67], v[214:215], v[56:57]
	;; [unrolled: 1-line block ×3, first 2 shown]
	v_add_f64 v[70:71], v[226:227], -v[218:219]
	v_add_f64 v[72:73], v[232:233], -v[234:235]
	v_add_f64 v[66:67], v[66:67], v[60:61]
	v_add_f64 v[220:221], v[64:65], v[234:235]
	;; [unrolled: 1-line block ×6, first 2 shown]
	v_fma_f64 v[230:231], -0.5, v[64:65], v[214:215]
	v_add_f64 v[64:65], v[218:219], -v[234:235]
	v_add_f64 v[34:35], v[34:35], v[222:223]
	v_fmac_f64_e32 v[224:225], s[14:15], v[70:71]
	v_fmac_f64_e32 v[212:213], s[14:15], v[70:71]
	v_add_f64 v[222:223], v[66:67], v[102:103]
	v_add_f64 v[66:67], v[226:227], -v[232:233]
	v_add_f64 v[68:69], v[56:57], -v[60:61]
	;; [unrolled: 1-line block ×3, first 2 shown]
	v_fma_f64 v[218:219], s[16:17], v[64:65], v[230:231]
	v_fmac_f64_e32 v[230:231], s[8:9], v[64:65]
	v_add_f64 v[68:69], v[68:69], v[70:71]
	v_fmac_f64_e32 v[218:219], s[18:19], v[66:67]
	v_fmac_f64_e32 v[230:231], s[12:13], v[66:67]
	;; [unrolled: 1-line block ×4, first 2 shown]
	v_add_f64 v[68:69], v[56:57], v[102:103]
	v_fmac_f64_e32 v[214:215], -0.5, v[68:69]
	v_add_f64 v[56:57], v[60:61], -v[56:57]
	v_add_f64 v[60:61], v[62:63], -v[102:103]
	v_fma_f64 v[226:227], s[8:9], v[66:67], v[214:215]
	v_fmac_f64_e32 v[214:215], s[16:17], v[66:67]
	v_add_f64 v[56:57], v[56:57], v[60:61]
	v_fmac_f64_e32 v[226:227], s[18:19], v[64:65]
	v_fmac_f64_e32 v[214:215], s[12:13], v[64:65]
	v_mul_f64 v[52:53], v[236:237], v[130:131]
	v_fmac_f64_e32 v[226:227], s[14:15], v[56:57]
	v_fmac_f64_e32 v[214:215], s[14:15], v[56:57]
	v_add_f64 v[56:57], v[50:51], -v[54:55]
	v_add_f64 v[60:61], v[100:101], -v[58:59]
	v_fmac_f64_e32 v[52:53], v[238:239], v[128:129]
	v_add_f64 v[56:57], v[56:57], v[60:61]
	v_add_f64 v[60:61], v[54:55], v[58:59]
	v_fma_f64 v[244:245], -0.5, v[60:61], v[200:201]
	v_add_f64 v[60:61], v[44:45], -v[52:53]
	v_add_f64 v[62:63], v[46:47], -v[48:49]
	v_fma_f64 v[232:233], s[8:9], v[60:61], v[244:245]
	v_fmac_f64_e32 v[244:245], s[16:17], v[60:61]
	v_fmac_f64_e32 v[232:233], s[12:13], v[62:63]
	;; [unrolled: 1-line block ×5, first 2 shown]
	v_add_f64 v[56:57], v[200:201], v[50:51]
	v_add_f64 v[56:57], v[56:57], v[54:55]
	;; [unrolled: 1-line block ×6, first 2 shown]
	v_fmac_f64_e32 v[200:201], -0.5, v[64:65]
	v_add_f64 v[64:65], v[54:55], -v[50:51]
	v_fma_f64 v[246:247], -0.5, v[56:57], v[202:203]
	v_add_f64 v[50:51], v[50:51], -v[100:101]
	v_add_f64 v[66:67], v[58:59], -v[100:101]
	v_add_f64 v[54:55], v[54:55], -v[58:59]
	v_add_f64 v[56:57], v[44:45], -v[46:47]
	v_add_f64 v[58:59], v[52:53], -v[48:49]
	v_fma_f64 v[234:235], s[16:17], v[50:51], v[246:247]
	v_fmac_f64_e32 v[246:247], s[8:9], v[50:51]
	v_add_f64 v[56:57], v[56:57], v[58:59]
	v_fmac_f64_e32 v[234:235], s[18:19], v[54:55]
	v_fmac_f64_e32 v[246:247], s[12:13], v[54:55]
	v_fma_f64 v[240:241], s[16:17], v[62:63], v[200:201]
	v_fmac_f64_e32 v[200:201], s[8:9], v[62:63]
	v_fmac_f64_e32 v[234:235], s[14:15], v[56:57]
	;; [unrolled: 1-line block ×3, first 2 shown]
	v_add_f64 v[56:57], v[44:45], v[52:53]
	v_fmac_f64_e32 v[240:241], s[12:13], v[60:61]
	v_fmac_f64_e32 v[200:201], s[18:19], v[60:61]
	v_add_f64 v[60:61], v[202:203], v[44:45]
	v_fmac_f64_e32 v[202:203], -0.5, v[56:57]
	v_add_f64 v[60:61], v[60:61], v[46:47]
	v_add_f64 v[44:45], v[46:47], -v[44:45]
	v_add_f64 v[46:47], v[48:49], -v[52:53]
	v_fma_f64 v[242:243], s[8:9], v[54:55], v[202:203]
	v_fmac_f64_e32 v[202:203], s[16:17], v[54:55]
	ds_write_b128 v116, v[40:43]
	v_accvgpr_read_b32 v40, a130
	v_add_f64 v[64:65], v[64:65], v[66:67]
	v_add_f64 v[60:61], v[60:61], v[48:49]
	;; [unrolled: 1-line block ×3, first 2 shown]
	v_fmac_f64_e32 v[242:243], s[18:19], v[50:51]
	v_fmac_f64_e32 v[202:203], s[12:13], v[50:51]
	s_add_u32 s8, s2, 0x1450
	v_lshl_add_u32 v118, v40, 4, v78
	v_fmac_f64_e32 v[240:241], s[14:15], v[64:65]
	v_fmac_f64_e32 v[200:201], s[14:15], v[64:65]
	v_add_f64 v[238:239], v[60:61], v[52:53]
	v_fmac_f64_e32 v[242:243], s[14:15], v[44:45]
	v_fmac_f64_e32 v[202:203], s[14:15], v[44:45]
	s_addc_u32 s9, s3, 0
	ds_write_b128 v118, v[36:39] offset:1040
	ds_write_b128 v118, v[4:7] offset:2080
	;; [unrolled: 1-line block ×24, first 2 shown]
	v_lshlrev_b32_e32 v16, 4, v40
	s_waitcnt lgkmcnt(0)
	; wave barrier
	s_waitcnt lgkmcnt(0)
	global_load_dwordx4 v[8:11], v16, s[8:9]
	global_load_dwordx4 v[18:21], v16, s[8:9] offset:400
	global_load_dwordx4 v[22:25], v16, s[8:9] offset:800
	;; [unrolled: 1-line block ×5, first 2 shown]
	ds_read_b128 v[30:33], v116
	ds_read_b128 v[34:37], v116 offset:400
	global_load_dwordx4 v[12:15], v16, s[8:9] offset:2400
	ds_read_b128 v[42:45], v116 offset:800
	global_load_dwordx4 v[46:49], v16, s[8:9] offset:3200
	v_mov_b32_e32 v17, 0
	v_accvgpr_write_b32 a82, v112
	v_accvgpr_write_b32 a78, v90
	;; [unrolled: 1-line block ×28, first 2 shown]
	v_mov_b32_e32 v114, v78
	s_waitcnt vmcnt(7) lgkmcnt(2)
	v_mul_f64 v[38:39], v[32:33], v[10:11]
	v_mul_f64 v[40:41], v[30:31], v[10:11]
	v_fma_f64 v[38:39], v[30:31], v[8:9], -v[38:39]
	v_fmac_f64_e32 v[40:41], v[32:33], v[8:9]
	global_load_dwordx4 v[8:11], v16, s[8:9] offset:2800
	s_waitcnt vmcnt(7) lgkmcnt(1)
	v_mul_f64 v[30:31], v[36:37], v[20:21]
	v_mul_f64 v[32:33], v[34:35], v[20:21]
	v_fma_f64 v[30:31], v[34:35], v[18:19], -v[30:31]
	v_fmac_f64_e32 v[32:33], v[36:37], v[18:19]
	ds_read_b128 v[34:37], v116 offset:1200
	s_waitcnt vmcnt(6) lgkmcnt(1)
	v_mul_f64 v[18:19], v[44:45], v[24:25]
	v_mul_f64 v[52:53], v[42:43], v[24:25]
	v_fma_f64 v[50:51], v[42:43], v[22:23], -v[18:19]
	v_fmac_f64_e32 v[52:53], v[44:45], v[22:23]
	global_load_dwordx4 v[20:23], v16, s[8:9] offset:3600
	s_waitcnt vmcnt(6) lgkmcnt(0)
	v_mul_f64 v[24:25], v[36:37], v[28:29]
	v_mul_f64 v[44:45], v[34:35], v[28:29]
	v_fma_f64 v[42:43], v[34:35], v[26:27], -v[24:25]
	v_fmac_f64_e32 v[44:45], v[36:37], v[26:27]
	global_load_dwordx4 v[24:27], v16, s[8:9] offset:4000
	v_lshl_add_u64 v[18:19], s[8:9], 0, v[16:17]
	v_add_co_u32_e64 v16, s[0:1], s0, v18
	ds_write_b128 v116, v[38:41]
	s_nop 0
	v_addc_co_u32_e64 v17, s[0:1], 0, v19, s[0:1]
	global_load_dwordx4 v[34:37], v[16:17], off offset:304
	global_load_dwordx4 v[38:41], v[16:17], off offset:704
	ds_write_b128 v116, v[30:33] offset:400
	ds_read_b128 v[28:31], v116 offset:1600
	ds_write_b128 v116, v[50:53] offset:800
	ds_write_b128 v116, v[42:45] offset:1200
	ds_read_b128 v[42:45], v116 offset:2000
	s_waitcnt vmcnt(8) lgkmcnt(3)
	v_mul_f64 v[32:33], v[30:31], v[2:3]
	v_mul_f64 v[52:53], v[28:29], v[2:3]
	v_fma_f64 v[50:51], v[28:29], v[0:1], -v[32:33]
	v_fmac_f64_e32 v[52:53], v[30:31], v[0:1]
	ds_read_b128 v[28:31], v116 offset:2400
	s_waitcnt vmcnt(7) lgkmcnt(1)
	v_mul_f64 v[0:1], v[44:45], v[6:7]
	v_mul_f64 v[2:3], v[42:43], v[6:7]
	v_fma_f64 v[0:1], v[42:43], v[4:5], -v[0:1]
	v_fmac_f64_e32 v[2:3], v[44:45], v[4:5]
	ds_write_b128 v116, v[0:3] offset:2000
	ds_read_b128 v[0:3], v116 offset:2800
	s_waitcnt vmcnt(6) lgkmcnt(2)
	v_mul_f64 v[4:5], v[30:31], v[14:15]
	v_mul_f64 v[6:7], v[28:29], v[14:15]
	v_fma_f64 v[4:5], v[28:29], v[12:13], -v[4:5]
	v_fmac_f64_e32 v[6:7], v[30:31], v[12:13]
	ds_read_b128 v[12:15], v116 offset:3200
	ds_write_b128 v116, v[4:7] offset:2400
	ds_write_b128 v116, v[50:53] offset:1600
	s_waitcnt vmcnt(4) lgkmcnt(3)
	v_mul_f64 v[4:5], v[2:3], v[10:11]
	v_mul_f64 v[6:7], v[0:1], v[10:11]
	v_fma_f64 v[4:5], v[0:1], v[8:9], -v[4:5]
	v_fmac_f64_e32 v[6:7], v[2:3], v[8:9]
	ds_read_b128 v[0:3], v116 offset:3600
	ds_read_b128 v[8:11], v116 offset:4000
	ds_write_b128 v116, v[4:7] offset:2800
	s_waitcnt lgkmcnt(5)
	v_mul_f64 v[4:5], v[14:15], v[48:49]
	v_mul_f64 v[6:7], v[12:13], v[48:49]
	v_fma_f64 v[4:5], v[12:13], v[46:47], -v[4:5]
	v_fmac_f64_e32 v[6:7], v[14:15], v[46:47]
	ds_write_b128 v116, v[4:7] offset:3200
	s_waitcnt vmcnt(3) lgkmcnt(3)
	v_mul_f64 v[4:5], v[2:3], v[22:23]
	v_mul_f64 v[6:7], v[0:1], v[22:23]
	v_fma_f64 v[4:5], v[0:1], v[20:21], -v[4:5]
	v_fmac_f64_e32 v[6:7], v[2:3], v[20:21]
	ds_write_b128 v116, v[4:7] offset:3600
	s_waitcnt vmcnt(2) lgkmcnt(3)
	v_mul_f64 v[4:5], v[10:11], v[26:27]
	v_mul_f64 v[6:7], v[8:9], v[26:27]
	ds_read_b128 v[0:3], v116 offset:4400
	v_fma_f64 v[4:5], v[8:9], v[24:25], -v[4:5]
	v_fmac_f64_e32 v[6:7], v[10:11], v[24:25]
	ds_write_b128 v116, v[4:7] offset:4000
	ds_read_b128 v[4:7], v116 offset:4800
	s_waitcnt vmcnt(1) lgkmcnt(2)
	v_mul_f64 v[8:9], v[2:3], v[36:37]
	v_mul_f64 v[10:11], v[0:1], v[36:37]
	v_fma_f64 v[8:9], v[0:1], v[34:35], -v[8:9]
	v_fmac_f64_e32 v[10:11], v[2:3], v[34:35]
	s_waitcnt vmcnt(0) lgkmcnt(0)
	v_mul_f64 v[0:1], v[6:7], v[40:41]
	v_mul_f64 v[2:3], v[4:5], v[40:41]
	v_fma_f64 v[0:1], v[4:5], v[38:39], -v[0:1]
	v_fmac_f64_e32 v[2:3], v[6:7], v[38:39]
	ds_write_b128 v116, v[8:11] offset:4400
	ds_write_b128 v116, v[0:3] offset:4800
	s_and_saveexec_b64 s[0:1], vcc
	s_cbranch_execz .LBB0_9
; %bb.8:
	global_load_dwordx4 v[4:7], v[18:19], off offset:208
	ds_read_b128 v[0:3], v118 offset:208
	s_waitcnt vmcnt(0) lgkmcnt(0)
	v_mul_f64 v[8:9], v[2:3], v[6:7]
	v_mul_f64 v[10:11], v[0:1], v[6:7]
	v_fma_f64 v[8:9], v[0:1], v[4:5], -v[8:9]
	v_fmac_f64_e32 v[10:11], v[2:3], v[4:5]
	global_load_dwordx4 v[4:7], v[18:19], off offset:608
	ds_write_b128 v118, v[8:11] offset:208
	ds_read_b128 v[0:3], v116 offset:608
	s_waitcnt vmcnt(0) lgkmcnt(0)
	v_mul_f64 v[8:9], v[2:3], v[6:7]
	v_mul_f64 v[10:11], v[0:1], v[6:7]
	v_fma_f64 v[8:9], v[0:1], v[4:5], -v[8:9]
	v_fmac_f64_e32 v[10:11], v[2:3], v[4:5]
	global_load_dwordx4 v[4:7], v[18:19], off offset:1008
	ds_read_b128 v[0:3], v116 offset:1008
	ds_write_b128 v116, v[8:11] offset:608
	s_waitcnt vmcnt(0) lgkmcnt(1)
	v_mul_f64 v[8:9], v[2:3], v[6:7]
	v_mul_f64 v[10:11], v[0:1], v[6:7]
	v_fma_f64 v[8:9], v[0:1], v[4:5], -v[8:9]
	v_fmac_f64_e32 v[10:11], v[2:3], v[4:5]
	global_load_dwordx4 v[4:7], v[18:19], off offset:1408
	ds_read_b128 v[0:3], v116 offset:1408
	ds_write_b128 v116, v[8:11] offset:1008
	;; [unrolled: 8-line block ×9, first 2 shown]
	s_waitcnt vmcnt(0) lgkmcnt(1)
	v_mul_f64 v[8:9], v[2:3], v[6:7]
	v_mul_f64 v[10:11], v[0:1], v[6:7]
	v_fma_f64 v[8:9], v[0:1], v[4:5], -v[8:9]
	v_fmac_f64_e32 v[10:11], v[2:3], v[4:5]
	v_mov_b32_e32 v4, 0x1200
	v_accvgpr_read_b32 v6, a0
	v_lshl_or_b32 v4, v6, 4, v4
	global_load_dwordx4 v[4:7], v4, s[8:9]
	ds_read_b128 v[0:3], v116 offset:4608
	ds_write_b128 v116, v[8:11] offset:4208
	s_waitcnt vmcnt(0) lgkmcnt(1)
	v_mul_f64 v[8:9], v[2:3], v[6:7]
	v_mul_f64 v[10:11], v[0:1], v[6:7]
	v_fma_f64 v[8:9], v[0:1], v[4:5], -v[8:9]
	v_fmac_f64_e32 v[10:11], v[2:3], v[4:5]
	global_load_dwordx4 v[4:7], v[16:17], off offset:912
	ds_read_b128 v[0:3], v116 offset:5008
	ds_write_b128 v116, v[8:11] offset:4608
	s_waitcnt vmcnt(0) lgkmcnt(1)
	v_mul_f64 v[8:9], v[2:3], v[6:7]
	v_mul_f64 v[10:11], v[0:1], v[6:7]
	v_fma_f64 v[8:9], v[0:1], v[4:5], -v[8:9]
	v_fmac_f64_e32 v[10:11], v[2:3], v[4:5]
	ds_write_b128 v116, v[8:11] offset:5008
.LBB0_9:
	s_or_b64 exec, exec, s[0:1]
	s_waitcnt lgkmcnt(0)
	; wave barrier
	s_waitcnt lgkmcnt(0)
	ds_read_b128 v[40:43], v116
	ds_read_b128 v[252:255], v116 offset:400
	ds_read_b128 v[36:39], v116 offset:800
	;; [unrolled: 1-line block ×12, first 2 shown]
	s_and_saveexec_b64 s[0:1], vcc
	s_cbranch_execz .LBB0_11
; %bb.10:
	ds_read_b128 v[204:207], v118 offset:208
	ds_read_b128 v[208:211], v118 offset:608
	;; [unrolled: 1-line block ×13, first 2 shown]
.LBB0_11:
	s_or_b64 exec, exec, s[0:1]
	s_waitcnt lgkmcnt(11)
	v_add_f64 v[34:35], v[42:43], v[254:255]
	v_add_f64 v[32:33], v[40:41], v[252:253]
	s_waitcnt lgkmcnt(10)
	v_add_f64 v[34:35], v[34:35], v[38:39]
	v_add_f64 v[32:33], v[32:33], v[36:37]
	;; [unrolled: 3-line block ×10, first 2 shown]
	s_waitcnt lgkmcnt(1)
	v_add_f64 v[34:35], v[34:35], v[250:251]
	s_mov_b32 s12, 0x4267c47c
	s_mov_b32 s16, 0x42a4c3d2
	;; [unrolled: 1-line block ×6, first 2 shown]
	v_add_f64 v[32:33], v[32:33], v[248:249]
	s_waitcnt lgkmcnt(0)
	v_add_f64 v[34:35], v[34:35], v[46:47]
	v_add_f64 v[50:51], v[254:255], v[46:47]
	v_add_f64 v[46:47], v[254:255], -v[46:47]
	s_mov_b32 s13, 0xbfddbe06
	s_mov_b32 s0, 0xe00740e9
	;; [unrolled: 1-line block ×11, first 2 shown]
	v_add_f64 v[32:33], v[32:33], v[44:45]
	v_add_f64 v[48:49], v[252:253], v[44:45]
	v_add_f64 v[44:45], v[252:253], -v[44:45]
	v_mul_f64 v[52:53], v[46:47], s[12:13]
	s_mov_b32 s1, 0x3fec55a7
	v_mul_f64 v[60:61], v[46:47], s[16:17]
	s_mov_b32 s9, 0x3fe22d96
	;; [unrolled: 2-line block ×5, first 2 shown]
	v_mul_f64 v[46:47], v[46:47], s[34:35]
	v_fma_f64 v[54:55], s[0:1], v[48:49], v[52:53]
	v_fma_f64 v[52:53], v[48:49], s[0:1], -v[52:53]
	v_fma_f64 v[62:63], s[8:9], v[48:49], v[60:61]
	v_fma_f64 v[60:61], v[48:49], s[8:9], -v[60:61]
	;; [unrolled: 2-line block ×6, first 2 shown]
	v_add_f64 v[54:55], v[40:41], v[54:55]
	v_mul_f64 v[56:57], v[50:51], s[0:1]
	s_mov_b32 s27, 0x3fddbe06
	s_mov_b32 s26, s12
	v_add_f64 v[52:53], v[40:41], v[52:53]
	v_add_f64 v[62:63], v[40:41], v[62:63]
	v_mul_f64 v[64:65], v[50:51], s[8:9]
	s_mov_b32 s43, 0x3fea55e2
	s_mov_b32 s42, s16
	v_add_f64 v[60:61], v[40:41], v[60:61]
	;; [unrolled: 5-line block ×5, first 2 shown]
	v_add_f64 v[88:89], v[40:41], v[88:89]
	v_mul_f64 v[50:51], v[50:51], s[28:29]
	s_mov_b32 s44, s34
	v_add_f64 v[40:41], v[40:41], v[46:47]
	v_add_f64 v[46:47], v[38:39], v[250:251]
	v_add_f64 v[38:39], v[38:39], -v[250:251]
	v_fma_f64 v[58:59], s[26:27], v[44:45], v[56:57]
	v_fmac_f64_e32 v[56:57], s[12:13], v[44:45]
	v_fma_f64 v[66:67], s[42:43], v[44:45], v[64:65]
	v_fmac_f64_e32 v[64:65], s[16:17], v[44:45]
	;; [unrolled: 2-line block ×6, first 2 shown]
	v_add_f64 v[44:45], v[36:37], v[248:249]
	v_mul_f64 v[48:49], v[38:39], s[16:17]
	v_add_f64 v[58:59], v[42:43], v[58:59]
	v_add_f64 v[56:57], v[42:43], v[56:57]
	;; [unrolled: 1-line block ×12, first 2 shown]
	v_fma_f64 v[50:51], s[8:9], v[44:45], v[48:49]
	v_add_f64 v[36:37], v[36:37], -v[248:249]
	v_add_f64 v[50:51], v[50:51], v[54:55]
	v_mul_f64 v[54:55], v[46:47], s[8:9]
	v_fma_f64 v[248:249], s[42:43], v[36:37], v[54:55]
	v_fma_f64 v[48:49], v[44:45], s[8:9], -v[48:49]
	v_fmac_f64_e32 v[54:55], s[16:17], v[36:37]
	v_add_f64 v[48:49], v[48:49], v[52:53]
	v_add_f64 v[52:53], v[54:55], v[56:57]
	v_mul_f64 v[54:55], v[38:39], s[24:25]
	v_fma_f64 v[56:57], s[18:19], v[44:45], v[54:55]
	v_add_f64 v[56:57], v[56:57], v[62:63]
	v_mul_f64 v[62:63], v[46:47], s[18:19]
	v_add_f64 v[58:59], v[248:249], v[58:59]
	v_fma_f64 v[248:249], s[40:41], v[36:37], v[62:63]
	v_fma_f64 v[54:55], v[44:45], s[18:19], -v[54:55]
	v_fmac_f64_e32 v[62:63], s[24:25], v[36:37]
	v_add_f64 v[54:55], v[54:55], v[60:61]
	v_add_f64 v[60:61], v[62:63], v[64:65]
	v_mul_f64 v[62:63], v[38:39], s[34:35]
	v_fma_f64 v[64:65], s[28:29], v[44:45], v[62:63]
	v_add_f64 v[64:65], v[64:65], v[70:71]
	v_mul_f64 v[70:71], v[46:47], s[28:29]
	v_add_f64 v[66:67], v[248:249], v[66:67]
	;; [unrolled: 10-line block ×3, first 2 shown]
	v_fma_f64 v[248:249], s[30:31], v[36:37], v[78:79]
	v_add_f64 v[102:103], v[248:249], v[102:103]
	v_fma_f64 v[70:71], v[44:45], s[22:23], -v[70:71]
	v_fmac_f64_e32 v[78:79], s[38:39], v[36:37]
	v_mul_f64 v[248:249], v[46:47], s[14:15]
	v_add_f64 v[70:71], v[70:71], v[76:77]
	v_add_f64 v[76:77], v[78:79], v[100:101]
	v_mul_f64 v[78:79], v[38:39], s[36:37]
	v_fma_f64 v[250:251], s[20:21], v[36:37], v[248:249]
	v_fmac_f64_e32 v[248:249], s[36:37], v[36:37]
	v_mul_f64 v[38:39], v[38:39], s[26:27]
	v_add_f64 v[80:81], v[248:249], v[80:81]
	v_fma_f64 v[248:249], s[0:1], v[44:45], v[38:39]
	v_mul_f64 v[46:47], v[46:47], s[0:1]
	v_add_f64 v[88:89], v[248:249], v[88:89]
	v_fma_f64 v[248:249], s[12:13], v[36:37], v[46:47]
	v_fmac_f64_e32 v[46:47], s[26:27], v[36:37]
	v_fma_f64 v[38:39], v[44:45], s[0:1], -v[38:39]
	v_add_f64 v[36:37], v[46:47], v[42:43]
	v_add_f64 v[42:43], v[26:27], v[30:31]
	v_add_f64 v[26:27], v[26:27], -v[30:31]
	v_add_f64 v[38:39], v[38:39], v[40:41]
	v_add_f64 v[40:41], v[24:25], v[28:29]
	v_add_f64 v[24:25], v[24:25], -v[28:29]
	v_mul_f64 v[28:29], v[26:27], s[20:21]
	v_fma_f64 v[100:101], s[14:15], v[44:45], v[78:79]
	v_fma_f64 v[78:79], v[44:45], s[14:15], -v[78:79]
	v_fma_f64 v[30:31], s[14:15], v[40:41], v[28:29]
	v_mul_f64 v[44:45], v[42:43], s[14:15]
	v_fma_f64 v[28:29], v[40:41], s[14:15], -v[28:29]
	v_fma_f64 v[46:47], s[36:37], v[24:25], v[44:45]
	v_add_f64 v[28:29], v[28:29], v[48:49]
	v_fmac_f64_e32 v[44:45], s[20:21], v[24:25]
	v_mul_f64 v[48:49], v[26:27], s[34:35]
	v_add_f64 v[30:31], v[30:31], v[50:51]
	v_add_f64 v[44:45], v[44:45], v[52:53]
	v_fma_f64 v[50:51], s[28:29], v[40:41], v[48:49]
	v_mul_f64 v[52:53], v[42:43], s[28:29]
	v_fma_f64 v[48:49], v[40:41], s[28:29], -v[48:49]
	v_add_f64 v[50:51], v[50:51], v[56:57]
	v_fma_f64 v[56:57], s[44:45], v[24:25], v[52:53]
	v_add_f64 v[48:49], v[48:49], v[54:55]
	v_fmac_f64_e32 v[52:53], s[34:35], v[24:25]
	v_mul_f64 v[54:55], v[26:27], s[40:41]
	v_add_f64 v[46:47], v[46:47], v[58:59]
	v_add_f64 v[52:53], v[52:53], v[60:61]
	v_fma_f64 v[58:59], s[18:19], v[40:41], v[54:55]
	v_mul_f64 v[60:61], v[42:43], s[18:19]
	v_fma_f64 v[54:55], v[40:41], s[18:19], -v[54:55]
	v_add_f64 v[58:59], v[58:59], v[64:65]
	;; [unrolled: 10-line block ×3, first 2 shown]
	v_fma_f64 v[72:73], s[12:13], v[24:25], v[68:69]
	v_add_f64 v[62:63], v[62:63], v[70:71]
	v_fmac_f64_e32 v[68:69], s[26:27], v[24:25]
	v_mul_f64 v[70:71], v[26:27], s[16:17]
	v_add_f64 v[100:101], v[100:101], v[254:255]
	v_add_f64 v[78:79], v[78:79], v[252:253]
	;; [unrolled: 1-line block ×4, first 2 shown]
	v_fma_f64 v[74:75], s[8:9], v[40:41], v[70:71]
	v_mul_f64 v[76:77], v[42:43], s[8:9]
	v_fma_f64 v[70:71], v[40:41], s[8:9], -v[70:71]
	v_mul_f64 v[26:27], v[26:27], s[30:31]
	v_add_f64 v[74:75], v[74:75], v[100:101]
	v_fma_f64 v[100:101], s[42:43], v[24:25], v[76:77]
	v_add_f64 v[70:71], v[70:71], v[78:79]
	v_fmac_f64_e32 v[76:77], s[16:17], v[24:25]
	v_fma_f64 v[78:79], s[22:23], v[40:41], v[26:27]
	v_mul_f64 v[42:43], v[42:43], s[22:23]
	v_fma_f64 v[26:27], v[40:41], s[22:23], -v[26:27]
	v_add_f64 v[76:77], v[76:77], v[80:81]
	v_fma_f64 v[80:81], s[38:39], v[24:25], v[42:43]
	v_add_f64 v[26:27], v[26:27], v[38:39]
	v_fmac_f64_e32 v[42:43], s[30:31], v[24:25]
	v_add_f64 v[38:39], v[18:19], v[22:23]
	v_add_f64 v[18:19], v[18:19], -v[22:23]
	v_add_f64 v[24:25], v[42:43], v[36:37]
	v_add_f64 v[36:37], v[16:17], v[20:21]
	v_add_f64 v[16:17], v[16:17], -v[20:21]
	v_mul_f64 v[20:21], v[18:19], s[24:25]
	v_fma_f64 v[22:23], s[18:19], v[36:37], v[20:21]
	v_add_f64 v[22:23], v[22:23], v[30:31]
	v_mul_f64 v[30:31], v[38:39], s[18:19]
	v_fma_f64 v[40:41], s[40:41], v[16:17], v[30:31]
	v_fma_f64 v[20:21], v[36:37], s[18:19], -v[20:21]
	v_fmac_f64_e32 v[30:31], s[24:25], v[16:17]
	v_add_f64 v[20:21], v[20:21], v[28:29]
	v_add_f64 v[28:29], v[30:31], v[44:45]
	v_mul_f64 v[30:31], v[18:19], s[38:39]
	v_fma_f64 v[42:43], s[22:23], v[36:37], v[30:31]
	v_fma_f64 v[30:31], v[36:37], s[22:23], -v[30:31]
	v_mul_f64 v[44:45], v[38:39], s[22:23]
	v_add_f64 v[30:31], v[30:31], v[48:49]
	v_mul_f64 v[48:49], v[18:19], s[26:27]
	v_add_f64 v[40:41], v[40:41], v[46:47]
	v_add_f64 v[42:43], v[42:43], v[50:51]
	v_fma_f64 v[46:47], s[30:31], v[16:17], v[44:45]
	v_fmac_f64_e32 v[44:45], s[38:39], v[16:17]
	v_fma_f64 v[50:51], s[0:1], v[36:37], v[48:49]
	v_fma_f64 v[48:49], v[36:37], s[0:1], -v[48:49]
	v_add_f64 v[44:45], v[44:45], v[52:53]
	v_mul_f64 v[52:53], v[38:39], s[0:1]
	v_add_f64 v[48:49], v[48:49], v[54:55]
	v_mul_f64 v[54:55], v[18:19], s[20:21]
	v_add_f64 v[46:47], v[46:47], v[56:57]
	v_add_f64 v[50:51], v[50:51], v[58:59]
	v_fma_f64 v[56:57], s[12:13], v[16:17], v[52:53]
	v_fmac_f64_e32 v[52:53], s[26:27], v[16:17]
	v_fma_f64 v[58:59], s[14:15], v[36:37], v[54:55]
	v_fma_f64 v[54:55], v[36:37], s[14:15], -v[54:55]
	v_add_f64 v[52:53], v[52:53], v[60:61]
	v_mul_f64 v[60:61], v[38:39], s[14:15]
	v_add_f64 v[54:55], v[54:55], v[62:63]
	v_mul_f64 v[62:63], v[18:19], s[44:45]
	v_add_f64 v[56:57], v[56:57], v[64:65]
	v_add_f64 v[58:59], v[58:59], v[66:67]
	v_fma_f64 v[64:65], s[36:37], v[16:17], v[60:61]
	v_fmac_f64_e32 v[60:61], s[20:21], v[16:17]
	v_fma_f64 v[66:67], s[28:29], v[36:37], v[62:63]
	v_fma_f64 v[62:63], v[36:37], s[28:29], -v[62:63]
	v_mul_f64 v[18:19], v[18:19], s[42:43]
	v_add_f64 v[60:61], v[60:61], v[68:69]
	v_mul_f64 v[68:69], v[38:39], s[28:29]
	v_add_f64 v[62:63], v[62:63], v[70:71]
	v_fma_f64 v[70:71], s[8:9], v[36:37], v[18:19]
	v_mul_f64 v[38:39], v[38:39], s[8:9]
	v_fma_f64 v[18:19], v[36:37], s[8:9], -v[18:19]
	v_add_f64 v[72:73], v[72:73], v[102:103]
	v_add_f64 v[66:67], v[66:67], v[74:75]
	v_fma_f64 v[74:75], s[16:17], v[16:17], v[38:39]
	v_add_f64 v[18:19], v[18:19], v[26:27]
	v_fmac_f64_e32 v[38:39], s[42:43], v[16:17]
	v_add_f64 v[26:27], v[10:11], v[14:15]
	v_add_f64 v[10:11], v[10:11], -v[14:15]
	v_add_f64 v[64:65], v[64:65], v[72:73]
	v_fma_f64 v[72:73], s[34:35], v[16:17], v[68:69]
	v_fmac_f64_e32 v[68:69], s[44:45], v[16:17]
	v_add_f64 v[16:17], v[38:39], v[24:25]
	v_add_f64 v[24:25], v[8:9], v[12:13]
	v_add_f64 v[8:9], v[8:9], -v[12:13]
	v_mul_f64 v[12:13], v[10:11], s[30:31]
	v_fma_f64 v[14:15], s[22:23], v[24:25], v[12:13]
	v_add_f64 v[14:15], v[14:15], v[22:23]
	v_mul_f64 v[22:23], v[26:27], s[22:23]
	v_fma_f64 v[36:37], s[38:39], v[8:9], v[22:23]
	v_fma_f64 v[12:13], v[24:25], s[22:23], -v[12:13]
	v_fmac_f64_e32 v[22:23], s[30:31], v[8:9]
	v_add_f64 v[12:13], v[12:13], v[20:21]
	v_add_f64 v[20:21], v[22:23], v[28:29]
	v_mul_f64 v[22:23], v[10:11], s[36:37]
	v_mul_f64 v[38:39], v[26:27], s[14:15]
	v_add_f64 v[36:37], v[36:37], v[40:41]
	v_fma_f64 v[28:29], s[14:15], v[24:25], v[22:23]
	v_fma_f64 v[40:41], s[20:21], v[8:9], v[38:39]
	v_fma_f64 v[22:23], v[24:25], s[14:15], -v[22:23]
	v_fmac_f64_e32 v[38:39], s[36:37], v[8:9]
	v_add_f64 v[22:23], v[22:23], v[30:31]
	v_add_f64 v[30:31], v[38:39], v[44:45]
	v_mul_f64 v[38:39], v[10:11], s[16:17]
	v_mul_f64 v[44:45], v[26:27], s[8:9]
	v_add_f64 v[28:29], v[28:29], v[42:43]
	v_add_f64 v[40:41], v[40:41], v[46:47]
	v_fma_f64 v[42:43], s[8:9], v[24:25], v[38:39]
	v_fma_f64 v[46:47], s[42:43], v[8:9], v[44:45]
	v_fma_f64 v[38:39], v[24:25], s[8:9], -v[38:39]
	v_fmac_f64_e32 v[44:45], s[16:17], v[8:9]
	v_add_f64 v[38:39], v[38:39], v[48:49]
	v_add_f64 v[44:45], v[44:45], v[52:53]
	v_mul_f64 v[48:49], v[10:11], s[44:45]
	v_mul_f64 v[52:53], v[26:27], s[28:29]
	v_add_f64 v[82:83], v[250:251], v[82:83]
	v_add_f64 v[42:43], v[42:43], v[50:51]
	;; [unrolled: 1-line block ×3, first 2 shown]
	v_fma_f64 v[50:51], s[28:29], v[24:25], v[48:49]
	v_fma_f64 v[56:57], s[34:35], v[8:9], v[52:53]
	v_fma_f64 v[48:49], v[24:25], s[28:29], -v[48:49]
	v_fmac_f64_e32 v[52:53], s[44:45], v[8:9]
	v_add_f64 v[90:91], v[248:249], v[90:91]
	v_add_f64 v[82:83], v[100:101], v[82:83]
	v_add_f64 v[78:79], v[78:79], v[88:89]
	v_add_f64 v[48:49], v[48:49], v[54:55]
	v_add_f64 v[52:53], v[52:53], v[60:61]
	v_mul_f64 v[54:55], v[10:11], s[26:27]
	v_mul_f64 v[60:61], v[26:27], s[0:1]
	v_add_f64 v[80:81], v[80:81], v[90:91]
	v_add_f64 v[72:73], v[72:73], v[82:83]
	;; [unrolled: 1-line block ×5, first 2 shown]
	v_fma_f64 v[58:59], s[0:1], v[24:25], v[54:55]
	v_fma_f64 v[64:65], s[12:13], v[8:9], v[60:61]
	v_mul_f64 v[26:27], v[26:27], s[18:19]
	v_add_f64 v[78:79], v[2:3], -v[6:7]
	v_add_f64 v[68:69], v[68:69], v[76:77]
	v_add_f64 v[74:75], v[74:75], v[80:81]
	;; [unrolled: 1-line block ×4, first 2 shown]
	v_fma_f64 v[66:67], s[40:41], v[8:9], v[26:27]
	v_add_f64 v[72:73], v[0:1], v[4:5]
	v_add_f64 v[76:77], v[0:1], -v[4:5]
	v_mul_f64 v[4:5], v[78:79], s[34:35]
	v_add_f64 v[66:67], v[66:67], v[74:75]
	v_add_f64 v[74:75], v[2:3], v[6:7]
	v_fma_f64 v[0:1], s[28:29], v[72:73], v[4:5]
	v_fma_f64 v[4:5], v[72:73], s[28:29], -v[4:5]
	v_mul_f64 v[6:7], v[74:75], s[28:29]
	v_add_f64 v[4:5], v[4:5], v[12:13]
	v_mul_f64 v[12:13], v[78:79], s[26:27]
	v_fma_f64 v[54:55], v[24:25], s[0:1], -v[54:55]
	v_fmac_f64_e32 v[60:61], s[26:27], v[8:9]
	v_mul_f64 v[10:11], v[10:11], s[24:25]
	v_fmac_f64_e32 v[26:27], s[24:25], v[8:9]
	v_fma_f64 v[2:3], s[44:45], v[76:77], v[6:7]
	v_fmac_f64_e32 v[6:7], s[34:35], v[76:77]
	v_fma_f64 v[8:9], s[0:1], v[72:73], v[12:13]
	v_add_f64 v[54:55], v[54:55], v[62:63]
	v_fma_f64 v[62:63], s[18:19], v[24:25], v[10:11]
	v_fma_f64 v[10:11], v[24:25], s[18:19], -v[10:11]
	v_add_f64 v[0:1], v[0:1], v[14:15]
	v_add_f64 v[6:7], v[6:7], v[20:21]
	;; [unrolled: 1-line block ×3, first 2 shown]
	v_mul_f64 v[14:15], v[74:75], s[0:1]
	v_fma_f64 v[12:13], v[72:73], s[0:1], -v[12:13]
	v_mul_f64 v[20:21], v[78:79], s[30:31]
	v_mul_f64 v[28:29], v[78:79], s[42:43]
	v_add_f64 v[60:61], v[60:61], v[68:69]
	v_add_f64 v[62:63], v[62:63], v[70:71]
	;; [unrolled: 1-line block ×4, first 2 shown]
	v_fma_f64 v[10:11], s[12:13], v[76:77], v[14:15]
	v_add_f64 v[12:13], v[12:13], v[22:23]
	v_fmac_f64_e32 v[14:15], s[26:27], v[76:77]
	v_fma_f64 v[16:17], s[22:23], v[72:73], v[20:21]
	v_mul_f64 v[22:23], v[74:75], s[22:23]
	v_fma_f64 v[24:25], s[8:9], v[72:73], v[28:29]
	v_fma_f64 v[28:29], v[72:73], s[8:9], -v[28:29]
	v_add_f64 v[10:11], v[10:11], v[40:41]
	v_add_f64 v[14:15], v[14:15], v[30:31]
	;; [unrolled: 1-line block ×3, first 2 shown]
	v_fma_f64 v[18:19], s[38:39], v[76:77], v[22:23]
	v_fma_f64 v[20:21], v[72:73], s[22:23], -v[20:21]
	v_fmac_f64_e32 v[22:23], s[30:31], v[76:77]
	v_add_f64 v[24:25], v[24:25], v[50:51]
	v_mul_f64 v[30:31], v[74:75], s[8:9]
	v_add_f64 v[28:29], v[28:29], v[48:49]
	v_mul_f64 v[40:41], v[78:79], s[24:25]
	v_mul_f64 v[42:43], v[74:75], s[18:19]
	;; [unrolled: 1-line block ×4, first 2 shown]
	v_add_u32_e32 v132, 0x340, v116
	v_add_f64 v[2:3], v[2:3], v[36:37]
	v_add_f64 v[18:19], v[18:19], v[46:47]
	;; [unrolled: 1-line block ×4, first 2 shown]
	v_fma_f64 v[26:27], s[16:17], v[76:77], v[30:31]
	v_fmac_f64_e32 v[30:31], s[42:43], v[76:77]
	v_fma_f64 v[36:37], s[18:19], v[72:73], v[40:41]
	v_fma_f64 v[38:39], s[40:41], v[76:77], v[42:43]
	v_fma_f64 v[40:41], v[72:73], s[18:19], -v[40:41]
	v_fmac_f64_e32 v[42:43], s[24:25], v[76:77]
	v_fma_f64 v[44:45], s[14:15], v[72:73], v[48:49]
	v_fma_f64 v[46:47], s[20:21], v[76:77], v[50:51]
	v_fma_f64 v[48:49], v[72:73], s[14:15], -v[48:49]
	v_fmac_f64_e32 v[50:51], s[36:37], v[76:77]
	v_add_f64 v[26:27], v[26:27], v[56:57]
	v_add_f64 v[30:31], v[30:31], v[52:53]
	;; [unrolled: 1-line block ×10, first 2 shown]
	s_waitcnt lgkmcnt(0)
	; wave barrier
	ds_write_b128 v117, v[32:35]
	ds_write_b128 v117, v[0:3] offset:16
	ds_write_b128 v117, v[8:11] offset:32
	;; [unrolled: 1-line block ×12, first 2 shown]
	s_and_saveexec_b64 s[46:47], vcc
	s_cbranch_execz .LBB0_13
; %bb.12:
	v_accvgpr_read_b32 v87, a61
	v_accvgpr_read_b32 v85, a59
	;; [unrolled: 1-line block ×4, first 2 shown]
	v_add_f64 v[50:51], v[208:209], -v[84:85]
	v_add_f64 v[102:103], v[220:221], -v[244:245]
	v_mul_f64 v[20:21], v[50:51], s[34:35]
	v_add_f64 v[38:39], v[210:211], v[86:87]
	v_add_f64 v[62:63], v[210:211], -v[86:87]
	v_add_f64 v[100:101], v[216:217], -v[200:201]
	v_mul_f64 v[16:17], v[102:103], s[26:27]
	v_add_f64 v[36:37], v[222:223], v[246:247]
	v_fma_f64 v[22:23], s[28:29], v[38:39], v[20:21]
	v_add_f64 v[60:61], v[222:223], -v[246:247]
	v_add_f64 v[250:251], v[208:209], v[84:85]
	v_mul_f64 v[70:71], v[62:63], s[34:35]
	v_add_f64 v[48:49], v[224:225], -v[240:241]
	v_mul_f64 v[12:13], v[100:101], s[30:31]
	v_add_f64 v[34:35], v[218:219], v[202:203]
	v_fma_f64 v[18:19], s[0:1], v[36:37], v[16:17]
	v_add_f64 v[22:23], v[206:207], v[22:23]
	v_add_f64 v[58:59], v[218:219], -v[202:203]
	v_add_f64 v[248:249], v[220:221], v[244:245]
	v_mul_f64 v[66:67], v[60:61], s[26:27]
	v_fma_f64 v[72:73], v[250:251], s[28:29], -v[70:71]
	v_add_f64 v[254:255], v[212:213], -v[232:233]
	v_mul_f64 v[8:9], v[48:49], s[42:43]
	v_add_f64 v[32:33], v[226:227], v[242:243]
	v_fma_f64 v[14:15], s[22:23], v[34:35], v[12:13]
	v_add_f64 v[18:19], v[18:19], v[22:23]
	v_add_f64 v[56:57], v[226:227], -v[242:243]
	v_add_f64 v[46:47], v[216:217], v[200:201]
	v_mul_f64 v[26:27], v[58:59], s[30:31]
	v_fma_f64 v[68:69], v[248:249], s[0:1], -v[66:67]
	v_add_f64 v[72:73], v[204:205], v[72:73]
	v_add_f64 v[252:253], v[228:229], -v[236:237]
	v_mul_f64 v[6:7], v[254:255], s[24:25]
	v_add_f64 v[30:31], v[214:215], v[234:235]
	v_fma_f64 v[10:11], s[8:9], v[32:33], v[8:9]
	v_add_f64 v[14:15], v[14:15], v[18:19]
	v_add_f64 v[54:55], v[214:215], -v[234:235]
	v_add_f64 v[44:45], v[224:225], v[240:241]
	v_mul_f64 v[22:23], v[56:57], s[42:43]
	v_fma_f64 v[64:65], v[46:47], s[22:23], -v[26:27]
	v_add_f64 v[68:69], v[68:69], v[72:73]
	v_mul_f64 v[4:5], v[252:253], s[36:37]
	v_add_f64 v[28:29], v[230:231], v[238:239]
	v_fma_f64 v[2:3], s[18:19], v[30:31], v[6:7]
	v_add_f64 v[10:11], v[10:11], v[14:15]
	v_add_f64 v[52:53], v[230:231], -v[238:239]
	v_add_f64 v[42:43], v[212:213], v[232:233]
	v_mul_f64 v[14:15], v[54:55], s[24:25]
	v_fma_f64 v[24:25], v[44:45], s[8:9], -v[22:23]
	v_add_f64 v[64:65], v[64:65], v[68:69]
	v_fma_f64 v[0:1], s[14:15], v[28:29], v[4:5]
	v_add_f64 v[2:3], v[2:3], v[10:11]
	v_add_f64 v[40:41], v[228:229], v[236:237]
	v_mul_f64 v[10:11], v[52:53], s[36:37]
	v_fma_f64 v[18:19], v[42:43], s[18:19], -v[14:15]
	v_add_f64 v[24:25], v[24:25], v[64:65]
	v_add_f64 v[2:3], v[0:1], v[2:3]
	v_fma_f64 v[0:1], v[40:41], s[14:15], -v[10:11]
	v_add_f64 v[18:19], v[18:19], v[24:25]
	v_add_f64 v[0:1], v[0:1], v[18:19]
	v_fma_f64 v[18:19], v[38:39], s[28:29], -v[20:21]
	v_fma_f64 v[16:17], v[36:37], s[0:1], -v[16:17]
	v_add_f64 v[18:19], v[206:207], v[18:19]
	v_fma_f64 v[12:13], v[34:35], s[22:23], -v[12:13]
	v_add_f64 v[16:17], v[16:17], v[18:19]
	;; [unrolled: 2-line block ×5, first 2 shown]
	v_fmac_f64_e32 v[70:71], s[28:29], v[250:251]
	v_add_f64 v[6:7], v[4:5], v[6:7]
	v_fmac_f64_e32 v[66:67], s[0:1], v[248:249]
	v_add_f64 v[4:5], v[204:205], v[70:71]
	v_mul_f64 v[64:65], v[50:51], s[30:31]
	v_fmac_f64_e32 v[26:27], s[22:23], v[46:47]
	v_add_f64 v[4:5], v[66:67], v[4:5]
	v_mul_f64 v[24:25], v[102:103], s[36:37]
	v_fma_f64 v[66:67], s[22:23], v[38:39], v[64:65]
	v_mul_f64 v[78:79], v[62:63], s[30:31]
	v_fmac_f64_e32 v[22:23], s[8:9], v[44:45]
	v_add_f64 v[4:5], v[26:27], v[4:5]
	v_mul_f64 v[20:21], v[100:101], s[16:17]
	v_fma_f64 v[26:27], s[14:15], v[36:37], v[24:25]
	v_add_f64 v[66:67], v[206:207], v[66:67]
	v_mul_f64 v[74:75], v[60:61], s[36:37]
	v_fma_f64 v[80:81], v[250:251], s[22:23], -v[78:79]
	v_fmac_f64_e32 v[14:15], s[18:19], v[42:43]
	v_add_f64 v[4:5], v[22:23], v[4:5]
	v_mul_f64 v[16:17], v[48:49], s[44:45]
	v_fma_f64 v[22:23], s[8:9], v[34:35], v[20:21]
	v_add_f64 v[26:27], v[26:27], v[66:67]
	v_mul_f64 v[70:71], v[58:59], s[16:17]
	v_fma_f64 v[76:77], v[248:249], s[14:15], -v[74:75]
	v_add_f64 v[80:81], v[204:205], v[80:81]
	v_fmac_f64_e32 v[10:11], s[14:15], v[40:41]
	v_add_f64 v[4:5], v[14:15], v[4:5]
	v_mul_f64 v[14:15], v[254:255], s[26:27]
	v_fma_f64 v[18:19], s[28:29], v[32:33], v[16:17]
	v_add_f64 v[22:23], v[22:23], v[26:27]
	v_mul_f64 v[66:67], v[56:57], s[44:45]
	v_fma_f64 v[72:73], v[46:47], s[8:9], -v[70:71]
	v_add_f64 v[76:77], v[76:77], v[80:81]
	v_add_f64 v[4:5], v[10:11], v[4:5]
	v_mul_f64 v[12:13], v[252:253], s[24:25]
	v_fma_f64 v[10:11], s[0:1], v[30:31], v[14:15]
	v_add_f64 v[18:19], v[18:19], v[22:23]
	v_mul_f64 v[22:23], v[54:55], s[26:27]
	v_fma_f64 v[68:69], v[44:45], s[28:29], -v[66:67]
	v_add_f64 v[72:73], v[72:73], v[76:77]
	v_fma_f64 v[8:9], s[18:19], v[28:29], v[12:13]
	v_add_f64 v[10:11], v[10:11], v[18:19]
	v_mul_f64 v[18:19], v[52:53], s[24:25]
	v_fma_f64 v[26:27], v[42:43], s[0:1], -v[22:23]
	v_add_f64 v[68:69], v[68:69], v[72:73]
	v_add_f64 v[10:11], v[8:9], v[10:11]
	v_fma_f64 v[8:9], v[40:41], s[18:19], -v[18:19]
	v_add_f64 v[26:27], v[26:27], v[68:69]
	v_add_f64 v[8:9], v[8:9], v[26:27]
	v_fma_f64 v[26:27], v[38:39], s[22:23], -v[64:65]
	v_fma_f64 v[24:25], v[36:37], s[14:15], -v[24:25]
	v_add_f64 v[26:27], v[206:207], v[26:27]
	v_fma_f64 v[20:21], v[34:35], s[8:9], -v[20:21]
	v_add_f64 v[24:25], v[24:25], v[26:27]
	;; [unrolled: 2-line block ×5, first 2 shown]
	v_fmac_f64_e32 v[78:79], s[22:23], v[250:251]
	v_add_f64 v[14:15], v[12:13], v[14:15]
	v_fmac_f64_e32 v[74:75], s[14:15], v[248:249]
	v_add_f64 v[12:13], v[204:205], v[78:79]
	v_mul_f64 v[72:73], v[50:51], s[24:25]
	v_fmac_f64_e32 v[70:71], s[8:9], v[46:47]
	v_add_f64 v[12:13], v[74:75], v[12:13]
	v_mul_f64 v[68:69], v[102:103], s[38:39]
	v_fma_f64 v[74:75], s[18:19], v[38:39], v[72:73]
	v_mul_f64 v[90:91], v[62:63], s[24:25]
	v_fmac_f64_e32 v[66:67], s[28:29], v[44:45]
	v_add_f64 v[12:13], v[70:71], v[12:13]
	v_mul_f64 v[64:65], v[100:101], s[26:27]
	v_fma_f64 v[70:71], s[22:23], v[36:37], v[68:69]
	v_add_f64 v[74:75], v[206:207], v[74:75]
	v_mul_f64 v[82:83], v[60:61], s[38:39]
	v_fma_f64 v[92:93], v[250:251], s[18:19], -v[90:91]
	v_fmac_f64_e32 v[22:23], s[0:1], v[42:43]
	v_add_f64 v[12:13], v[66:67], v[12:13]
	v_mul_f64 v[24:25], v[48:49], s[20:21]
	v_fma_f64 v[66:67], s[0:1], v[34:35], v[64:65]
	v_add_f64 v[70:71], v[70:71], v[74:75]
	v_mul_f64 v[78:79], v[58:59], s[26:27]
	v_fma_f64 v[88:89], v[248:249], s[22:23], -v[82:83]
	v_add_f64 v[92:93], v[204:205], v[92:93]
	v_fmac_f64_e32 v[18:19], s[18:19], v[40:41]
	v_add_f64 v[12:13], v[22:23], v[12:13]
	v_mul_f64 v[22:23], v[254:255], s[44:45]
	v_fma_f64 v[26:27], s[14:15], v[32:33], v[24:25]
	v_add_f64 v[66:67], v[66:67], v[70:71]
	v_mul_f64 v[74:75], v[56:57], s[20:21]
	v_fma_f64 v[80:81], v[46:47], s[0:1], -v[78:79]
	v_add_f64 v[88:89], v[88:89], v[92:93]
	v_add_f64 v[12:13], v[18:19], v[12:13]
	v_mul_f64 v[20:21], v[252:253], s[42:43]
	v_fma_f64 v[18:19], s[28:29], v[30:31], v[22:23]
	v_add_f64 v[26:27], v[26:27], v[66:67]
	v_mul_f64 v[66:67], v[54:55], s[44:45]
	v_fma_f64 v[76:77], v[44:45], s[14:15], -v[74:75]
	v_add_f64 v[80:81], v[80:81], v[88:89]
	v_fma_f64 v[16:17], s[8:9], v[28:29], v[20:21]
	v_add_f64 v[18:19], v[18:19], v[26:27]
	v_mul_f64 v[26:27], v[52:53], s[42:43]
	v_fma_f64 v[70:71], v[42:43], s[28:29], -v[66:67]
	v_add_f64 v[76:77], v[76:77], v[80:81]
	v_add_f64 v[18:19], v[16:17], v[18:19]
	v_fma_f64 v[16:17], v[40:41], s[8:9], -v[26:27]
	v_add_f64 v[70:71], v[70:71], v[76:77]
	v_add_f64 v[16:17], v[16:17], v[70:71]
	v_fma_f64 v[70:71], v[38:39], s[18:19], -v[72:73]
	v_fma_f64 v[68:69], v[36:37], s[22:23], -v[68:69]
	v_add_f64 v[70:71], v[206:207], v[70:71]
	v_fma_f64 v[64:65], v[34:35], s[0:1], -v[64:65]
	v_add_f64 v[68:69], v[68:69], v[70:71]
	;; [unrolled: 2-line block ×5, first 2 shown]
	v_fmac_f64_e32 v[90:91], s[18:19], v[250:251]
	v_add_f64 v[22:23], v[20:21], v[22:23]
	v_fmac_f64_e32 v[82:83], s[22:23], v[248:249]
	v_add_f64 v[20:21], v[204:205], v[90:91]
	v_mul_f64 v[80:81], v[50:51], s[20:21]
	v_fmac_f64_e32 v[78:79], s[0:1], v[46:47]
	v_add_f64 v[20:21], v[82:83], v[20:21]
	v_mul_f64 v[76:77], v[102:103], s[34:35]
	v_fma_f64 v[82:83], s[14:15], v[38:39], v[80:81]
	v_mov_b32_e32 v119, v98
	v_mul_f64 v[98:99], v[62:63], s[20:21]
	v_fmac_f64_e32 v[74:75], s[14:15], v[44:45]
	v_add_f64 v[20:21], v[78:79], v[20:21]
	v_mul_f64 v[72:73], v[100:101], s[40:41]
	v_fma_f64 v[78:79], s[28:29], v[36:37], v[76:77]
	v_add_f64 v[82:83], v[206:207], v[82:83]
	v_mul_f64 v[94:95], v[60:61], s[34:35]
	v_fma_f64 v[104:105], v[250:251], s[14:15], -v[98:99]
	v_fmac_f64_e32 v[66:67], s[28:29], v[42:43]
	v_add_f64 v[20:21], v[74:75], v[20:21]
	v_mul_f64 v[68:69], v[48:49], s[26:27]
	v_fma_f64 v[74:75], s[18:19], v[34:35], v[72:73]
	v_add_f64 v[78:79], v[78:79], v[82:83]
	v_mul_f64 v[90:91], v[58:59], s[40:41]
	v_mov_b32_e32 v115, v96
	v_mov_b32_e32 v117, v97
	v_fma_f64 v[96:97], v[248:249], s[28:29], -v[94:95]
	v_add_f64 v[104:105], v[204:205], v[104:105]
	v_fmac_f64_e32 v[26:27], s[8:9], v[40:41]
	v_add_f64 v[20:21], v[66:67], v[20:21]
	v_mul_f64 v[66:67], v[254:255], s[16:17]
	v_fma_f64 v[70:71], s[0:1], v[32:33], v[68:69]
	v_add_f64 v[74:75], v[74:75], v[78:79]
	v_mul_f64 v[82:83], v[56:57], s[26:27]
	v_fma_f64 v[92:93], v[46:47], s[18:19], -v[90:91]
	v_add_f64 v[96:97], v[96:97], v[104:105]
	v_add_f64 v[20:21], v[26:27], v[20:21]
	v_mul_f64 v[64:65], v[252:253], s[30:31]
	v_fma_f64 v[26:27], s[8:9], v[30:31], v[66:67]
	v_add_f64 v[70:71], v[70:71], v[74:75]
	v_mul_f64 v[74:75], v[54:55], s[16:17]
	v_fma_f64 v[88:89], v[44:45], s[0:1], -v[82:83]
	v_add_f64 v[92:93], v[92:93], v[96:97]
	v_fma_f64 v[24:25], s[22:23], v[28:29], v[64:65]
	v_add_f64 v[26:27], v[26:27], v[70:71]
	v_mul_f64 v[70:71], v[52:53], s[30:31]
	v_fma_f64 v[78:79], v[42:43], s[8:9], -v[74:75]
	v_add_f64 v[88:89], v[88:89], v[92:93]
	v_add_f64 v[26:27], v[24:25], v[26:27]
	v_fma_f64 v[24:25], v[40:41], s[22:23], -v[70:71]
	v_add_f64 v[78:79], v[78:79], v[88:89]
	v_add_f64 v[24:25], v[24:25], v[78:79]
	v_fma_f64 v[78:79], v[38:39], s[14:15], -v[80:81]
	v_fma_f64 v[76:77], v[36:37], s[28:29], -v[76:77]
	v_add_f64 v[78:79], v[206:207], v[78:79]
	v_fma_f64 v[72:73], v[34:35], s[18:19], -v[72:73]
	v_add_f64 v[76:77], v[76:77], v[78:79]
	;; [unrolled: 2-line block ×5, first 2 shown]
	v_fmac_f64_e32 v[98:99], s[14:15], v[250:251]
	v_add_f64 v[66:67], v[64:65], v[66:67]
	v_fmac_f64_e32 v[94:95], s[28:29], v[248:249]
	v_add_f64 v[64:65], v[204:205], v[98:99]
	v_mul_f64 v[92:93], v[50:51], s[16:17]
	v_accvgpr_write_b32 a58, v108
	v_fmac_f64_e32 v[90:91], s[18:19], v[46:47]
	v_add_f64 v[64:65], v[94:95], v[64:65]
	v_mul_f64 v[88:89], v[102:103], s[24:25]
	v_fma_f64 v[94:95], s[8:9], v[38:39], v[92:93]
	v_accvgpr_write_b32 a59, v109
	v_accvgpr_write_b32 a60, v110
	v_accvgpr_write_b32 a61, v111
	v_mul_f64 v[110:111], v[62:63], s[16:17]
	v_fmac_f64_e32 v[82:83], s[0:1], v[44:45]
	v_add_f64 v[64:65], v[90:91], v[64:65]
	v_mul_f64 v[80:81], v[100:101], s[34:35]
	v_fma_f64 v[90:91], s[18:19], v[36:37], v[88:89]
	v_add_f64 v[94:95], v[206:207], v[94:95]
	v_mul_f64 v[106:107], v[60:61], s[24:25]
	v_fma_f64 v[112:113], v[250:251], s[8:9], -v[110:111]
	v_fmac_f64_e32 v[74:75], s[8:9], v[42:43]
	v_add_f64 v[64:65], v[82:83], v[64:65]
	v_mul_f64 v[76:77], v[48:49], s[38:39]
	v_fma_f64 v[82:83], s[28:29], v[34:35], v[80:81]
	v_add_f64 v[90:91], v[90:91], v[94:95]
	v_mul_f64 v[98:99], v[58:59], s[34:35]
	v_fma_f64 v[108:109], v[248:249], s[18:19], -v[106:107]
	v_add_f64 v[112:113], v[204:205], v[112:113]
	v_fmac_f64_e32 v[70:71], s[22:23], v[40:41]
	v_add_f64 v[64:65], v[74:75], v[64:65]
	v_mul_f64 v[74:75], v[254:255], s[36:37]
	v_fma_f64 v[78:79], s[22:23], v[32:33], v[76:77]
	v_add_f64 v[82:83], v[82:83], v[90:91]
	v_mul_f64 v[94:95], v[56:57], s[38:39]
	v_fma_f64 v[104:105], v[46:47], s[28:29], -v[98:99]
	v_add_f64 v[108:109], v[108:109], v[112:113]
	v_add_f64 v[64:65], v[70:71], v[64:65]
	v_mul_f64 v[72:73], v[252:253], s[26:27]
	v_fma_f64 v[70:71], s[14:15], v[30:31], v[74:75]
	v_add_f64 v[78:79], v[78:79], v[82:83]
	v_mul_f64 v[82:83], v[54:55], s[36:37]
	v_fma_f64 v[96:97], v[44:45], s[22:23], -v[94:95]
	v_add_f64 v[104:105], v[104:105], v[108:109]
	v_fma_f64 v[68:69], s[0:1], v[28:29], v[72:73]
	v_add_f64 v[70:71], v[70:71], v[78:79]
	v_mul_f64 v[78:79], v[52:53], s[26:27]
	v_fma_f64 v[90:91], v[42:43], s[14:15], -v[82:83]
	v_add_f64 v[96:97], v[96:97], v[104:105]
	v_add_f64 v[70:71], v[68:69], v[70:71]
	v_fma_f64 v[68:69], v[40:41], s[0:1], -v[78:79]
	v_add_f64 v[90:91], v[90:91], v[96:97]
	v_add_f64 v[68:69], v[68:69], v[90:91]
	v_fma_f64 v[90:91], v[38:39], s[8:9], -v[92:93]
	v_fma_f64 v[88:89], v[36:37], s[18:19], -v[88:89]
	v_add_f64 v[90:91], v[206:207], v[90:91]
	v_fma_f64 v[80:81], v[34:35], s[28:29], -v[80:81]
	v_add_f64 v[88:89], v[88:89], v[90:91]
	;; [unrolled: 2-line block ×5, first 2 shown]
	v_fmac_f64_e32 v[110:111], s[8:9], v[250:251]
	v_add_f64 v[74:75], v[72:73], v[74:75]
	v_fmac_f64_e32 v[106:107], s[18:19], v[248:249]
	v_add_f64 v[72:73], v[204:205], v[110:111]
	;; [unrolled: 2-line block ×4, first 2 shown]
	v_mul_f64 v[98:99], v[50:51], s[12:13]
	v_add_f64 v[72:73], v[94:95], v[72:73]
	v_mul_f64 v[94:95], v[102:103], s[16:17]
	v_fma_f64 v[50:51], s[0:1], v[38:39], v[98:99]
	v_fma_f64 v[38:39], v[38:39], s[0:1], -v[98:99]
	v_mul_f64 v[90:91], v[100:101], s[20:21]
	v_fma_f64 v[96:97], s[8:9], v[36:37], v[94:95]
	v_fma_f64 v[36:37], v[36:37], s[8:9], -v[94:95]
	v_add_f64 v[38:39], v[206:207], v[38:39]
	v_mul_f64 v[88:89], v[48:49], s[24:25]
	v_fma_f64 v[92:93], s[14:15], v[34:35], v[90:91]
	v_fma_f64 v[34:35], v[34:35], s[14:15], -v[90:91]
	v_add_f64 v[36:37], v[36:37], v[38:39]
	v_fmac_f64_e32 v[82:83], s[14:15], v[42:43]
	v_mul_f64 v[80:81], v[254:255], s[30:31]
	v_fma_f64 v[48:49], s[18:19], v[32:33], v[88:89]
	v_fma_f64 v[32:33], v[32:33], s[18:19], -v[88:89]
	v_add_f64 v[34:35], v[34:35], v[36:37]
	v_add_f64 v[72:73], v[82:83], v[72:73]
	v_fma_f64 v[82:83], s[22:23], v[30:31], v[80:81]
	v_fma_f64 v[30:31], v[30:31], s[22:23], -v[80:81]
	v_add_f64 v[32:33], v[32:33], v[34:35]
	v_add_f64 v[30:31], v[30:31], v[32:33]
	;; [unrolled: 1-line block ×19, first 2 shown]
	v_fmac_f64_e32 v[78:79], s[0:1], v[40:41]
	v_mul_f64 v[76:77], v[252:253], s[34:35]
	v_add_f64 v[50:51], v[206:207], v[50:51]
	v_mul_f64 v[62:63], v[62:63], s[12:13]
	v_add_f64 v[32:33], v[32:33], v[228:229]
	v_add_f64 v[72:73], v[78:79], v[72:73]
	v_fma_f64 v[78:79], s[28:29], v[28:29], v[76:77]
	v_add_f64 v[50:51], v[96:97], v[50:51]
	v_mul_f64 v[60:61], v[60:61], s[16:17]
	v_fma_f64 v[100:101], v[250:251], s[0:1], -v[62:63]
	v_fma_f64 v[28:29], v[28:29], s[28:29], -v[76:77]
	v_fmac_f64_e32 v[62:63], s[0:1], v[250:251]
	v_add_f64 v[32:33], v[32:33], v[236:237]
	v_add_f64 v[50:51], v[92:93], v[50:51]
	v_mul_f64 v[58:59], v[58:59], s[20:21]
	v_fma_f64 v[96:97], v[248:249], s[8:9], -v[60:61]
	v_add_f64 v[100:101], v[204:205], v[100:101]
	v_add_f64 v[30:31], v[28:29], v[30:31]
	v_fmac_f64_e32 v[60:61], s[8:9], v[248:249]
	v_add_f64 v[28:29], v[204:205], v[62:63]
	v_add_f64 v[32:33], v[32:33], v[232:233]
	;; [unrolled: 1-line block ×3, first 2 shown]
	v_mul_f64 v[56:57], v[56:57], s[24:25]
	v_fma_f64 v[92:93], v[46:47], s[14:15], -v[58:59]
	v_add_f64 v[96:97], v[96:97], v[100:101]
	v_fmac_f64_e32 v[58:59], s[14:15], v[46:47]
	v_add_f64 v[28:29], v[60:61], v[28:29]
	v_add_f64 v[32:33], v[32:33], v[240:241]
	;; [unrolled: 1-line block ×3, first 2 shown]
	v_mul_f64 v[54:55], v[54:55], s[30:31]
	v_fma_f64 v[82:83], v[44:45], s[18:19], -v[56:57]
	v_add_f64 v[92:93], v[92:93], v[96:97]
	v_fmac_f64_e32 v[56:57], s[18:19], v[44:45]
	v_add_f64 v[28:29], v[58:59], v[28:29]
	v_add_f64 v[32:33], v[32:33], v[200:201]
	v_accvgpr_read_b32 v111, a61
	v_add_f64 v[50:51], v[78:79], v[48:49]
	v_mul_f64 v[52:53], v[52:53], s[34:35]
	v_fma_f64 v[78:79], v[42:43], s[22:23], -v[54:55]
	v_add_f64 v[82:83], v[82:83], v[92:93]
	v_fmac_f64_e32 v[54:55], s[22:23], v[42:43]
	v_add_f64 v[28:29], v[56:57], v[28:29]
	v_add_f64 v[32:33], v[32:33], v[244:245]
	v_accvgpr_read_b32 v36, a5
	v_accvgpr_read_b32 v110, a60
	v_accvgpr_read_b32 v109, a59
	v_accvgpr_read_b32 v108, a58
	v_fma_f64 v[48:49], v[40:41], s[28:29], -v[52:53]
	v_mov_b32_e32 v97, v117
	v_mov_b32_e32 v96, v115
	v_add_f64 v[78:79], v[78:79], v[82:83]
	v_mov_b32_e32 v98, v119
	v_fmac_f64_e32 v[52:53], s[28:29], v[40:41]
	v_add_f64 v[28:29], v[54:55], v[28:29]
	v_add_f64 v[32:33], v[32:33], v[84:85]
	v_lshl_add_u32 v36, v36, 4, v114
	v_add_f64 v[48:49], v[48:49], v[78:79]
	v_add_f64 v[28:29], v[52:53], v[28:29]
	ds_write_b128 v36, v[32:35]
	ds_write_b128 v36, v[28:31] offset:16
	ds_write_b128 v36, v[72:75] offset:32
	;; [unrolled: 1-line block ×12, first 2 shown]
.LBB0_13:
	s_or_b64 exec, exec, s[46:47]
	s_waitcnt lgkmcnt(0)
	; wave barrier
	s_waitcnt lgkmcnt(0)
	ds_read_b128 v[0:3], v116 offset:1040
	ds_read_b128 v[4:7], v116 offset:2080
	ds_read_b128 v[8:11], v116 offset:2288
	ds_read_b128 v[12:15], v116 offset:4160
	ds_read_b128 v[16:19], v116 offset:4368
	ds_read_b128 v[20:23], v116 offset:1248
	ds_read_b128 v[24:27], v116 offset:1456
	ds_read_b128 v[28:31], v116 offset:3328
	s_waitcnt lgkmcnt(7)
	v_mul_f64 v[32:33], v[150:151], v[2:3]
	v_fmac_f64_e32 v[32:33], v[148:149], v[0:1]
	v_mul_f64 v[0:1], v[150:151], v[0:1]
	v_fma_f64 v[34:35], v[148:149], v[2:3], -v[0:1]
	s_waitcnt lgkmcnt(6)
	v_mul_f64 v[0:1], v[146:147], v[4:5]
	v_fma_f64 v[38:39], v[144:145], v[6:7], -v[0:1]
	s_waitcnt lgkmcnt(2)
	v_mul_f64 v[0:1], v[150:151], v[20:21]
	v_fma_f64 v[42:43], v[148:149], v[22:23], -v[0:1]
	ds_read_b128 v[0:3], v116 offset:3120
	v_mul_f64 v[36:37], v[146:147], v[6:7]
	v_mul_f64 v[44:45], v[146:147], v[10:11]
	v_fmac_f64_e32 v[36:37], v[144:145], v[4:5]
	v_fmac_f64_e32 v[44:45], v[144:145], v[8:9]
	v_mul_f64 v[4:5], v[146:147], v[8:9]
	s_waitcnt lgkmcnt(2)
	v_mul_f64 v[8:9], v[158:159], v[24:25]
	v_fma_f64 v[46:47], v[144:145], v[10:11], -v[4:5]
	v_fma_f64 v[66:67], v[156:157], v[26:27], -v[8:9]
	ds_read_b128 v[8:11], v116 offset:2704
	s_waitcnt lgkmcnt(1)
	v_mul_f64 v[48:49], v[142:143], v[2:3]
	v_fmac_f64_e32 v[48:49], v[140:141], v[0:1]
	v_mul_f64 v[0:1], v[142:143], v[0:1]
	v_fma_f64 v[50:51], v[140:141], v[2:3], -v[0:1]
	v_mul_f64 v[0:1], v[142:143], v[28:29]
	ds_read_b128 v[4:7], v116 offset:3536
	v_fma_f64 v[54:55], v[140:141], v[30:31], -v[0:1]
	v_mul_f64 v[0:1], v[138:139], v[12:13]
	v_fma_f64 v[58:59], v[136:137], v[14:15], -v[0:1]
	v_mul_f64 v[0:1], v[138:139], v[16:17]
	v_fma_f64 v[62:63], v[136:137], v[18:19], -v[0:1]
	ds_read_b128 v[0:3], v116 offset:2496
	v_mul_f64 v[56:57], v[138:139], v[14:15]
	v_mul_f64 v[64:65], v[158:159], v[26:27]
	v_fmac_f64_e32 v[56:57], v[136:137], v[12:13]
	v_fmac_f64_e32 v[64:65], v[156:157], v[24:25]
	v_accvgpr_read_b32 v12, a126
	ds_read_b128 v[24:27], v116 offset:3952
	s_waitcnt lgkmcnt(2)
	v_mul_f64 v[72:73], v[174:175], v[6:7]
	v_accvgpr_read_b32 v14, a128
	v_accvgpr_read_b32 v15, a129
	v_fmac_f64_e32 v[72:73], v[172:173], v[4:5]
	v_mul_f64 v[4:5], v[174:175], v[4:5]
	v_accvgpr_read_b32 v13, a127
	v_fma_f64 v[74:75], v[172:173], v[6:7], -v[4:5]
	ds_read_b128 v[4:7], v116 offset:1664
	s_waitcnt lgkmcnt(2)
	v_mul_f64 v[68:69], v[14:15], v[2:3]
	v_fmac_f64_e32 v[68:69], v[12:13], v[0:1]
	v_mul_f64 v[0:1], v[14:15], v[0:1]
	v_fma_f64 v[70:71], v[12:13], v[2:3], -v[0:1]
	ds_read_b128 v[0:3], v116 offset:4576
	v_mul_f64 v[52:53], v[142:143], v[30:31]
	v_fmac_f64_e32 v[52:53], v[140:141], v[28:29]
	ds_read_b128 v[28:31], v116 offset:4992
	s_waitcnt lgkmcnt(2)
	v_mul_f64 v[80:81], v[170:171], v[6:7]
	s_waitcnt lgkmcnt(1)
	v_mul_f64 v[76:77], v[166:167], v[2:3]
	v_fmac_f64_e32 v[76:77], v[164:165], v[0:1]
	v_mul_f64 v[0:1], v[166:167], v[0:1]
	v_fma_f64 v[78:79], v[164:165], v[2:3], -v[0:1]
	ds_read_b128 v[12:15], v116 offset:4784
	v_fmac_f64_e32 v[80:81], v[168:169], v[4:5]
	v_mul_f64 v[0:1], v[170:171], v[4:5]
	ds_read_b128 v[2:5], v116 offset:3744
	v_mul_f64 v[40:41], v[150:151], v[22:23]
	v_fma_f64 v[0:1], v[168:169], v[6:7], -v[0:1]
	v_mul_f64 v[82:83], v[162:163], v[10:11]
	v_mul_f64 v[6:7], v[162:163], v[8:9]
	v_fmac_f64_e32 v[40:41], v[148:149], v[20:21]
	ds_read_b128 v[20:23], v116 offset:2912
	v_fmac_f64_e32 v[82:83], v[160:161], v[8:9]
	v_fma_f64 v[88:89], v[160:161], v[10:11], -v[6:7]
	ds_read_b128 v[6:9], v116 offset:1872
	ds_read_b128 v[100:103], v116
	ds_read_b128 v[144:147], v116 offset:208
	s_waitcnt lgkmcnt(4)
	v_mul_f64 v[90:91], v[190:191], v[4:5]
	v_fmac_f64_e32 v[90:91], v[188:189], v[2:3]
	v_mul_f64 v[2:3], v[190:191], v[2:3]
	v_fma_f64 v[2:3], v[188:189], v[4:5], -v[2:3]
	v_mul_f64 v[4:5], v[182:183], v[12:13]
	s_waitcnt lgkmcnt(2)
	v_mul_f64 v[10:11], v[186:187], v[8:9]
	v_mul_f64 v[92:93], v[182:183], v[14:15]
	v_fma_f64 v[94:95], v[180:181], v[14:15], -v[4:5]
	v_fmac_f64_e32 v[10:11], v[184:185], v[6:7]
	v_mul_f64 v[4:5], v[186:187], v[6:7]
	v_mul_f64 v[14:15], v[178:179], v[22:23]
	;; [unrolled: 1-line block ×4, first 2 shown]
	v_fmac_f64_e32 v[14:15], v[176:177], v[20:21]
	v_fma_f64 v[6:7], v[176:177], v[22:23], -v[6:7]
	s_waitcnt lgkmcnt(1)
	v_add_f64 v[20:21], v[100:101], v[32:33]
	v_add_f64 v[22:23], v[36:37], v[48:49]
	s_mov_b32 s14, 0x134454ff
	v_fmac_f64_e32 v[60:61], v[136:137], v[16:17]
	v_fma_f64 v[4:5], v[184:185], v[8:9], -v[4:5]
	v_mul_f64 v[16:17], v[198:199], v[26:27]
	v_mul_f64 v[8:9], v[198:199], v[24:25]
	;; [unrolled: 1-line block ×3, first 2 shown]
	v_fma_f64 v[136:137], -0.5, v[22:23], v[100:101]
	v_add_f64 v[22:23], v[34:35], -v[58:59]
	s_mov_b32 s15, 0xbfee6f0e
	s_mov_b32 s0, 0x4755a5e
	;; [unrolled: 1-line block ×4, first 2 shown]
	v_add_f64 v[20:21], v[20:21], v[36:37]
	v_fmac_f64_e32 v[92:93], v[180:181], v[12:13]
	v_fmac_f64_e32 v[16:17], v[196:197], v[24:25]
	v_fma_f64 v[8:9], v[196:197], v[26:27], -v[8:9]
	v_fmac_f64_e32 v[18:19], v[192:193], v[28:29]
	v_mul_f64 v[12:13], v[194:195], v[28:29]
	v_fma_f64 v[140:141], s[14:15], v[22:23], v[136:137]
	v_add_f64 v[24:25], v[38:39], -v[50:51]
	s_mov_b32 s1, 0xbfe2cf23
	v_add_f64 v[26:27], v[32:33], -v[36:37]
	v_add_f64 v[28:29], v[56:57], -v[48:49]
	s_mov_b32 s8, 0x372fe950
	v_fmac_f64_e32 v[136:137], s[12:13], v[22:23]
	s_mov_b32 s17, 0x3fe2cf23
	s_mov_b32 s16, s0
	v_add_f64 v[20:21], v[20:21], v[48:49]
	v_fma_f64 v[12:13], v[192:193], v[30:31], -v[12:13]
	v_fmac_f64_e32 v[140:141], s[0:1], v[24:25]
	v_add_f64 v[26:27], v[26:27], v[28:29]
	s_mov_b32 s9, 0x3fd3c6ef
	v_fmac_f64_e32 v[136:137], s[16:17], v[24:25]
	v_add_f64 v[192:193], v[20:21], v[56:57]
	v_add_f64 v[20:21], v[102:103], v[34:35]
	v_fmac_f64_e32 v[140:141], s[8:9], v[26:27]
	v_fmac_f64_e32 v[136:137], s[8:9], v[26:27]
	v_add_f64 v[26:27], v[32:33], v[56:57]
	v_add_f64 v[20:21], v[20:21], v[38:39]
	v_fmac_f64_e32 v[100:101], -0.5, v[26:27]
	v_add_f64 v[20:21], v[20:21], v[50:51]
	v_add_f64 v[26:27], v[36:37], -v[32:33]
	v_add_f64 v[28:29], v[48:49], -v[56:57]
	v_fma_f64 v[148:149], s[12:13], v[24:25], v[100:101]
	v_fmac_f64_e32 v[100:101], s[14:15], v[24:25]
	v_add_f64 v[194:195], v[20:21], v[58:59]
	v_add_f64 v[20:21], v[38:39], v[50:51]
	;; [unrolled: 1-line block ×3, first 2 shown]
	v_fmac_f64_e32 v[148:149], s[0:1], v[22:23]
	v_fmac_f64_e32 v[100:101], s[16:17], v[22:23]
	v_fma_f64 v[138:139], -0.5, v[20:21], v[102:103]
	v_add_f64 v[20:21], v[32:33], -v[56:57]
	v_fmac_f64_e32 v[148:149], s[8:9], v[26:27]
	v_fmac_f64_e32 v[100:101], s[8:9], v[26:27]
	v_add_f64 v[22:23], v[36:37], -v[48:49]
	v_add_f64 v[24:25], v[34:35], -v[38:39]
	;; [unrolled: 1-line block ×3, first 2 shown]
	v_fma_f64 v[142:143], s[12:13], v[20:21], v[138:139]
	v_fmac_f64_e32 v[138:139], s[14:15], v[20:21]
	v_add_f64 v[24:25], v[24:25], v[26:27]
	v_fmac_f64_e32 v[142:143], s[16:17], v[22:23]
	v_fmac_f64_e32 v[138:139], s[0:1], v[22:23]
	;; [unrolled: 1-line block ×4, first 2 shown]
	v_add_f64 v[24:25], v[34:35], v[58:59]
	v_fmac_f64_e32 v[102:103], -0.5, v[24:25]
	v_fma_f64 v[150:151], s[14:15], v[22:23], v[102:103]
	v_add_f64 v[24:25], v[38:39], -v[34:35]
	v_add_f64 v[26:27], v[50:51], -v[58:59]
	v_fmac_f64_e32 v[102:103], s[12:13], v[22:23]
	v_fmac_f64_e32 v[150:151], s[16:17], v[20:21]
	v_add_f64 v[24:25], v[24:25], v[26:27]
	v_fmac_f64_e32 v[102:103], s[0:1], v[20:21]
	v_add_f64 v[20:21], v[44:45], v[52:53]
	v_fmac_f64_e32 v[150:151], s[8:9], v[24:25]
	v_fmac_f64_e32 v[102:103], s[8:9], v[24:25]
	s_waitcnt lgkmcnt(0)
	v_fma_f64 v[152:153], -0.5, v[20:21], v[144:145]
	v_add_f64 v[20:21], v[42:43], -v[62:63]
	v_add_f64 v[22:23], v[40:41], -v[44:45]
	;; [unrolled: 1-line block ×3, first 2 shown]
	v_fma_f64 v[156:157], s[14:15], v[20:21], v[152:153]
	v_add_f64 v[22:23], v[22:23], v[24:25]
	v_add_f64 v[24:25], v[46:47], -v[54:55]
	v_fmac_f64_e32 v[152:153], s[12:13], v[20:21]
	v_fmac_f64_e32 v[156:157], s[0:1], v[24:25]
	;; [unrolled: 1-line block ×3, first 2 shown]
	v_add_f64 v[26:27], v[40:41], v[60:61]
	v_fmac_f64_e32 v[156:157], s[8:9], v[22:23]
	v_fmac_f64_e32 v[152:153], s[8:9], v[22:23]
	v_add_f64 v[22:23], v[144:145], v[40:41]
	v_fmac_f64_e32 v[144:145], -0.5, v[26:27]
	v_fma_f64 v[164:165], s[12:13], v[24:25], v[144:145]
	v_fmac_f64_e32 v[144:145], s[14:15], v[24:25]
	v_fmac_f64_e32 v[164:165], s[0:1], v[20:21]
	;; [unrolled: 1-line block ×3, first 2 shown]
	v_add_f64 v[20:21], v[22:23], v[44:45]
	v_add_f64 v[20:21], v[20:21], v[52:53]
	;; [unrolled: 1-line block ×3, first 2 shown]
	v_add_f64 v[26:27], v[44:45], -v[40:41]
	v_add_f64 v[28:29], v[52:53], -v[60:61]
	v_add_f64 v[22:23], v[22:23], v[46:47]
	v_add_f64 v[172:173], v[20:21], v[60:61]
	;; [unrolled: 1-line block ×5, first 2 shown]
	v_fma_f64 v[154:155], -0.5, v[20:21], v[146:147]
	v_add_f64 v[20:21], v[40:41], -v[60:61]
	v_fmac_f64_e32 v[164:165], s[8:9], v[26:27]
	v_fmac_f64_e32 v[144:145], s[8:9], v[26:27]
	v_add_f64 v[174:175], v[22:23], v[62:63]
	v_add_f64 v[22:23], v[44:45], -v[52:53]
	v_add_f64 v[24:25], v[42:43], -v[46:47]
	;; [unrolled: 1-line block ×3, first 2 shown]
	v_fma_f64 v[158:159], s[12:13], v[20:21], v[154:155]
	v_fmac_f64_e32 v[154:155], s[14:15], v[20:21]
	v_add_f64 v[24:25], v[24:25], v[26:27]
	v_fmac_f64_e32 v[158:159], s[16:17], v[22:23]
	v_fmac_f64_e32 v[154:155], s[0:1], v[22:23]
	ds_read_b128 v[160:163], v116 offset:416
	ds_read_b128 v[184:187], v116 offset:624
	v_fmac_f64_e32 v[158:159], s[8:9], v[24:25]
	v_fmac_f64_e32 v[154:155], s[8:9], v[24:25]
	v_add_f64 v[24:25], v[42:43], v[62:63]
	v_fmac_f64_e32 v[146:147], -0.5, v[24:25]
	v_add_f64 v[24:25], v[46:47], -v[42:43]
	v_fma_f64 v[166:167], s[14:15], v[22:23], v[146:147]
	v_add_f64 v[26:27], v[54:55], -v[62:63]
	v_fmac_f64_e32 v[146:147], s[12:13], v[22:23]
	v_fmac_f64_e32 v[166:167], s[16:17], v[20:21]
	v_add_f64 v[24:25], v[24:25], v[26:27]
	v_fmac_f64_e32 v[146:147], s[0:1], v[20:21]
	v_add_f64 v[20:21], v[68:69], v[72:73]
	v_fmac_f64_e32 v[166:167], s[8:9], v[24:25]
	v_fmac_f64_e32 v[146:147], s[8:9], v[24:25]
	s_waitcnt lgkmcnt(1)
	v_fma_f64 v[168:169], -0.5, v[20:21], v[160:161]
	v_add_f64 v[20:21], v[66:67], -v[78:79]
	v_add_f64 v[22:23], v[64:65], -v[68:69]
	;; [unrolled: 1-line block ×3, first 2 shown]
	v_add_f64 v[22:23], v[22:23], v[24:25]
	v_add_f64 v[24:25], v[70:71], -v[74:75]
	v_fma_f64 v[176:177], s[14:15], v[20:21], v[168:169]
	v_fmac_f64_e32 v[168:169], s[12:13], v[20:21]
	v_fmac_f64_e32 v[176:177], s[0:1], v[24:25]
	;; [unrolled: 1-line block ×3, first 2 shown]
	v_add_f64 v[26:27], v[64:65], v[76:77]
	v_fmac_f64_e32 v[176:177], s[8:9], v[22:23]
	v_fmac_f64_e32 v[168:169], s[8:9], v[22:23]
	v_add_f64 v[22:23], v[160:161], v[64:65]
	v_fmac_f64_e32 v[160:161], -0.5, v[26:27]
	v_fma_f64 v[180:181], s[12:13], v[24:25], v[160:161]
	v_fmac_f64_e32 v[160:161], s[14:15], v[24:25]
	v_fmac_f64_e32 v[180:181], s[0:1], v[20:21]
	;; [unrolled: 1-line block ×3, first 2 shown]
	v_add_f64 v[20:21], v[22:23], v[68:69]
	v_add_f64 v[20:21], v[20:21], v[72:73]
	;; [unrolled: 1-line block ×3, first 2 shown]
	v_add_f64 v[26:27], v[68:69], -v[64:65]
	v_add_f64 v[28:29], v[72:73], -v[76:77]
	v_add_f64 v[22:23], v[22:23], v[70:71]
	v_add_f64 v[196:197], v[20:21], v[76:77]
	;; [unrolled: 1-line block ×5, first 2 shown]
	v_fma_f64 v[170:171], -0.5, v[20:21], v[162:163]
	v_add_f64 v[20:21], v[64:65], -v[76:77]
	v_fmac_f64_e32 v[180:181], s[8:9], v[26:27]
	v_fmac_f64_e32 v[160:161], s[8:9], v[26:27]
	v_add_f64 v[198:199], v[22:23], v[78:79]
	v_add_f64 v[22:23], v[68:69], -v[72:73]
	v_add_f64 v[24:25], v[66:67], -v[70:71]
	;; [unrolled: 1-line block ×3, first 2 shown]
	v_fma_f64 v[178:179], s[12:13], v[20:21], v[170:171]
	v_fmac_f64_e32 v[170:171], s[14:15], v[20:21]
	v_add_f64 v[24:25], v[24:25], v[26:27]
	v_fmac_f64_e32 v[178:179], s[16:17], v[22:23]
	v_fmac_f64_e32 v[170:171], s[0:1], v[22:23]
	;; [unrolled: 1-line block ×4, first 2 shown]
	v_add_f64 v[24:25], v[66:67], v[78:79]
	v_fmac_f64_e32 v[162:163], -0.5, v[24:25]
	v_add_f64 v[24:25], v[70:71], -v[66:67]
	v_add_f64 v[26:27], v[74:75], -v[78:79]
	v_fma_f64 v[182:183], s[14:15], v[22:23], v[162:163]
	v_fmac_f64_e32 v[162:163], s[12:13], v[22:23]
	v_add_f64 v[24:25], v[24:25], v[26:27]
	v_fmac_f64_e32 v[182:183], s[16:17], v[20:21]
	v_fmac_f64_e32 v[162:163], s[0:1], v[20:21]
	v_add_f64 v[20:21], v[82:83], v[90:91]
	v_fmac_f64_e32 v[182:183], s[8:9], v[24:25]
	v_fmac_f64_e32 v[162:163], s[8:9], v[24:25]
	v_add_f64 v[22:23], v[80:81], -v[82:83]
	v_add_f64 v[24:25], v[92:93], -v[90:91]
	s_waitcnt lgkmcnt(0)
	v_fma_f64 v[188:189], -0.5, v[20:21], v[184:185]
	v_add_f64 v[20:21], v[0:1], -v[94:95]
	v_add_f64 v[22:23], v[22:23], v[24:25]
	v_add_f64 v[24:25], v[88:89], -v[2:3]
	v_fma_f64 v[200:201], s[14:15], v[20:21], v[188:189]
	v_fmac_f64_e32 v[188:189], s[12:13], v[20:21]
	v_fmac_f64_e32 v[200:201], s[0:1], v[24:25]
	;; [unrolled: 1-line block ×3, first 2 shown]
	v_add_f64 v[26:27], v[80:81], v[92:93]
	v_fmac_f64_e32 v[200:201], s[8:9], v[22:23]
	v_fmac_f64_e32 v[188:189], s[8:9], v[22:23]
	v_add_f64 v[22:23], v[184:185], v[80:81]
	v_fmac_f64_e32 v[184:185], -0.5, v[26:27]
	v_fma_f64 v[204:205], s[12:13], v[24:25], v[184:185]
	v_fmac_f64_e32 v[184:185], s[14:15], v[24:25]
	v_fmac_f64_e32 v[204:205], s[0:1], v[20:21]
	;; [unrolled: 1-line block ×3, first 2 shown]
	v_add_f64 v[20:21], v[22:23], v[82:83]
	v_add_f64 v[22:23], v[186:187], v[0:1]
	;; [unrolled: 1-line block ×4, first 2 shown]
	v_add_f64 v[26:27], v[82:83], -v[80:81]
	v_add_f64 v[28:29], v[90:91], -v[92:93]
	v_add_f64 v[22:23], v[22:23], v[2:3]
	v_add_f64 v[208:209], v[20:21], v[92:93]
	v_add_f64 v[20:21], v[88:89], v[2:3]
	v_add_f64 v[26:27], v[26:27], v[28:29]
	v_add_f64 v[210:211], v[22:23], v[94:95]
	v_fma_f64 v[190:191], -0.5, v[20:21], v[186:187]
	v_add_f64 v[22:23], v[80:81], -v[92:93]
	v_fmac_f64_e32 v[204:205], s[8:9], v[26:27]
	v_fmac_f64_e32 v[184:185], s[8:9], v[26:27]
	v_add_f64 v[24:25], v[82:83], -v[90:91]
	v_add_f64 v[20:21], v[0:1], -v[88:89]
	v_add_f64 v[26:27], v[94:95], -v[2:3]
	v_fma_f64 v[202:203], s[12:13], v[22:23], v[190:191]
	v_fmac_f64_e32 v[190:191], s[14:15], v[22:23]
	v_add_f64 v[20:21], v[20:21], v[26:27]
	v_fmac_f64_e32 v[202:203], s[16:17], v[24:25]
	v_fmac_f64_e32 v[190:191], s[0:1], v[24:25]
	;; [unrolled: 1-line block ×4, first 2 shown]
	v_add_f64 v[20:21], v[0:1], v[94:95]
	v_add_f64 v[0:1], v[88:89], -v[0:1]
	v_add_f64 v[2:3], v[2:3], -v[94:95]
	v_fmac_f64_e32 v[186:187], -0.5, v[20:21]
	v_add_f64 v[20:21], v[0:1], v[2:3]
	ds_read_b128 v[0:3], v116 offset:832
	v_fma_f64 v[206:207], s[14:15], v[24:25], v[186:187]
	v_fmac_f64_e32 v[186:187], s[12:13], v[24:25]
	v_fmac_f64_e32 v[206:207], s[16:17], v[22:23]
	;; [unrolled: 1-line block ×5, first 2 shown]
	v_add_f64 v[20:21], v[14:15], v[16:17]
	v_add_f64 v[22:23], v[10:11], -v[14:15]
	v_add_f64 v[24:25], v[18:19], -v[16:17]
	s_waitcnt lgkmcnt(0)
	v_fma_f64 v[20:21], -0.5, v[20:21], v[0:1]
	v_add_f64 v[26:27], v[4:5], -v[12:13]
	v_add_f64 v[22:23], v[22:23], v[24:25]
	v_add_f64 v[30:31], v[6:7], -v[8:9]
	v_fma_f64 v[24:25], s[14:15], v[26:27], v[20:21]
	v_fmac_f64_e32 v[20:21], s[12:13], v[26:27]
	v_fmac_f64_e32 v[24:25], s[0:1], v[30:31]
	;; [unrolled: 1-line block ×3, first 2 shown]
	v_add_f64 v[28:29], v[10:11], v[18:19]
	v_fmac_f64_e32 v[24:25], s[8:9], v[22:23]
	v_fmac_f64_e32 v[20:21], s[8:9], v[22:23]
	v_add_f64 v[22:23], v[0:1], v[10:11]
	v_fmac_f64_e32 v[0:1], -0.5, v[28:29]
	v_add_f64 v[28:29], v[14:15], -v[10:11]
	v_add_f64 v[32:33], v[16:17], -v[18:19]
	v_add_f64 v[32:33], v[28:29], v[32:33]
	v_fma_f64 v[28:29], s[12:13], v[30:31], v[0:1]
	v_fmac_f64_e32 v[0:1], s[14:15], v[30:31]
	v_add_f64 v[22:23], v[22:23], v[14:15]
	v_fmac_f64_e32 v[28:29], s[0:1], v[26:27]
	v_fmac_f64_e32 v[0:1], s[16:17], v[26:27]
	v_add_f64 v[22:23], v[22:23], v[16:17]
	v_add_f64 v[26:27], v[2:3], v[4:5]
	v_fmac_f64_e32 v[28:29], s[8:9], v[32:33]
	v_fmac_f64_e32 v[0:1], s[8:9], v[32:33]
	v_add_f64 v[26:27], v[26:27], v[6:7]
	v_add_f64 v[32:33], v[22:23], v[18:19]
	;; [unrolled: 1-line block ×4, first 2 shown]
	v_fma_f64 v[22:23], -0.5, v[22:23], v[2:3]
	v_add_f64 v[10:11], v[10:11], -v[18:19]
	v_add_f64 v[34:35], v[26:27], v[12:13]
	v_add_f64 v[14:15], v[14:15], -v[16:17]
	v_add_f64 v[16:17], v[4:5], -v[6:7]
	;; [unrolled: 1-line block ×3, first 2 shown]
	v_fma_f64 v[26:27], s[12:13], v[10:11], v[22:23]
	v_fmac_f64_e32 v[22:23], s[14:15], v[10:11]
	v_add_f64 v[16:17], v[16:17], v[18:19]
	v_fmac_f64_e32 v[26:27], s[16:17], v[14:15]
	v_fmac_f64_e32 v[22:23], s[0:1], v[14:15]
	v_fmac_f64_e32 v[26:27], s[8:9], v[16:17]
	v_fmac_f64_e32 v[22:23], s[8:9], v[16:17]
	v_add_f64 v[16:17], v[4:5], v[12:13]
	v_fmac_f64_e32 v[2:3], -0.5, v[16:17]
	v_add_f64 v[4:5], v[6:7], -v[4:5]
	v_add_f64 v[6:7], v[8:9], -v[12:13]
	v_fma_f64 v[30:31], s[14:15], v[14:15], v[2:3]
	v_fmac_f64_e32 v[2:3], s[12:13], v[14:15]
	v_add_f64 v[4:5], v[4:5], v[6:7]
	v_fmac_f64_e32 v[30:31], s[16:17], v[10:11]
	v_fmac_f64_e32 v[2:3], s[0:1], v[10:11]
	v_accvgpr_read_b32 v77, a73
	v_fmac_f64_e32 v[30:31], s[8:9], v[4:5]
	v_fmac_f64_e32 v[2:3], s[8:9], v[4:5]
	v_accvgpr_read_b32 v76, a72
	s_waitcnt lgkmcnt(0)
	; wave barrier
	ds_write_b128 v116, v[192:195]
	ds_write_b128 v116, v[140:143] offset:208
	ds_write_b128 v116, v[148:151] offset:416
	;; [unrolled: 1-line block ×24, first 2 shown]
	s_waitcnt lgkmcnt(0)
	; wave barrier
	s_waitcnt lgkmcnt(0)
	ds_read_b128 v[0:3], v116
	ds_read_b128 v[4:7], v116 offset:208
	ds_read_b128 v[20:23], v116 offset:2080
	;; [unrolled: 1-line block ×23, first 2 shown]
	v_accvgpr_read_b32 v75, a71
	v_accvgpr_read_b32 v74, a70
	s_waitcnt lgkmcnt(7)
	v_mul_f64 v[106:107], v[76:77], v[68:69]
	v_mul_f64 v[44:45], v[76:77], v[66:67]
	v_fmac_f64_e32 v[106:107], v[74:75], v[66:67]
	v_fma_f64 v[68:69], v[74:75], v[68:69], -v[44:45]
	v_accvgpr_read_b32 v77, a69
	v_accvgpr_read_b32 v76, a68
	;; [unrolled: 1-line block ×4, first 2 shown]
	v_mul_f64 v[112:113], v[76:77], v[22:23]
	v_fmac_f64_e32 v[112:113], v[74:75], v[20:21]
	v_mul_f64 v[20:21], v[76:77], v[20:21]
	v_fma_f64 v[114:115], v[74:75], v[22:23], -v[20:21]
	v_accvgpr_read_b32 v77, a65
	v_accvgpr_read_b32 v76, a64
	v_accvgpr_read_b32 v75, a63
	v_accvgpr_read_b32 v74, a62
	s_waitcnt lgkmcnt(3)
	v_mul_f64 v[20:21], v[76:77], v[70:71]
	v_fma_f64 v[164:165], v[74:75], v[72:73], -v[20:21]
	v_mul_f64 v[166:167], v[110:111], v[30:31]
	v_mul_f64 v[20:21], v[110:111], v[28:29]
	v_fmac_f64_e32 v[166:167], v[108:109], v[28:29]
	v_fma_f64 v[168:169], v[108:109], v[30:31], -v[20:21]
	v_accvgpr_read_b32 v28, a86
	v_accvgpr_read_b32 v30, a88
	;; [unrolled: 1-line block ×4, first 2 shown]
	v_mul_f64 v[170:171], v[30:31], v[38:39]
	v_mul_f64 v[20:21], v[30:31], v[36:37]
	v_fmac_f64_e32 v[170:171], v[28:29], v[36:37]
	v_fma_f64 v[44:45], v[28:29], v[38:39], -v[20:21]
	v_accvgpr_read_b32 v28, a82
	v_accvgpr_read_b32 v30, a84
	;; [unrolled: 1-line block ×4, first 2 shown]
	v_mul_f64 v[172:173], v[30:31], v[26:27]
	v_fmac_f64_e32 v[172:173], v[28:29], v[24:25]
	v_mul_f64 v[20:21], v[30:31], v[24:25]
	v_accvgpr_read_b32 v22, a78
	v_accvgpr_read_b32 v24, a80
	;; [unrolled: 1-line block ×3, first 2 shown]
	v_fma_f64 v[174:175], v[28:29], v[26:27], -v[20:21]
	v_accvgpr_read_b32 v23, a79
	v_mul_f64 v[176:177], v[24:25], v[48:49]
	v_mul_f64 v[20:21], v[24:25], v[46:47]
	v_fmac_f64_e32 v[176:177], v[22:23], v[46:47]
	v_fma_f64 v[46:47], v[22:23], v[48:49], -v[20:21]
	v_accvgpr_read_b32 v22, a74
	v_accvgpr_read_b32 v24, a76
	;; [unrolled: 1-line block ×4, first 2 shown]
	v_mul_f64 v[178:179], v[24:25], v[34:35]
	v_mul_f64 v[20:21], v[24:25], v[32:33]
	v_fmac_f64_e32 v[178:179], v[22:23], v[32:33]
	v_fma_f64 v[180:181], v[22:23], v[34:35], -v[20:21]
	v_accvgpr_read_b32 v22, a102
	v_accvgpr_read_b32 v24, a104
	;; [unrolled: 1-line block ×4, first 2 shown]
	v_mul_f64 v[66:67], v[24:25], v[42:43]
	v_mul_f64 v[20:21], v[24:25], v[40:41]
	;; [unrolled: 1-line block ×3, first 2 shown]
	v_fmac_f64_e32 v[66:67], v[22:23], v[40:41]
	v_fma_f64 v[72:73], v[22:23], v[42:43], -v[20:21]
	v_accvgpr_read_b32 v22, a98
	v_accvgpr_read_b32 v24, a100
	;; [unrolled: 1-line block ×3, first 2 shown]
	v_fmac_f64_e32 v[162:163], v[74:75], v[70:71]
	v_accvgpr_read_b32 v23, a99
	v_mul_f64 v[70:71], v[24:25], v[56:57]
	v_mul_f64 v[20:21], v[24:25], v[54:55]
	v_fmac_f64_e32 v[70:71], v[22:23], v[54:55]
	v_fma_f64 v[74:75], v[22:23], v[56:57], -v[20:21]
	v_accvgpr_read_b32 v22, a94
	v_accvgpr_read_b32 v24, a96
	v_accvgpr_read_b32 v25, a97
	v_accvgpr_read_b32 v23, a95
	v_mul_f64 v[80:81], v[24:25], v[52:53]
	v_mul_f64 v[20:21], v[24:25], v[50:51]
	v_fmac_f64_e32 v[80:81], v[22:23], v[50:51]
	v_fma_f64 v[76:77], v[22:23], v[52:53], -v[20:21]
	v_accvgpr_read_b32 v22, a90
	v_accvgpr_read_b32 v24, a92
	v_accvgpr_read_b32 v25, a93
	;; [unrolled: 8-line block ×4, first 2 shown]
	v_accvgpr_read_b32 v23, a111
	v_mul_f64 v[48:49], v[24:25], v[60:61]
	v_mul_f64 v[20:21], v[24:25], v[58:59]
	v_fmac_f64_e32 v[48:49], v[22:23], v[58:59]
	v_fma_f64 v[102:103], v[22:23], v[60:61], -v[20:21]
	v_accvgpr_read_b32 v22, a106
	s_waitcnt lgkmcnt(1)
	v_mul_f64 v[20:21], v[122:123], v[150:151]
	v_accvgpr_read_b32 v24, a108
	v_accvgpr_read_b32 v25, a109
	v_fma_f64 v[108:109], v[120:121], v[152:153], -v[20:21]
	v_accvgpr_read_b32 v23, a107
	v_mul_f64 v[110:111], v[24:25], v[140:141]
	v_mul_f64 v[20:21], v[24:25], v[138:139]
	v_fmac_f64_e32 v[110:111], v[22:23], v[138:139]
	v_fma_f64 v[104:105], v[22:23], v[140:141], -v[20:21]
	v_accvgpr_read_b32 v22, a122
	ds_read_b128 v[158:161], v116 offset:4992
	v_accvgpr_read_b32 v24, a124
	v_accvgpr_read_b32 v25, a125
	;; [unrolled: 1-line block ×3, first 2 shown]
	v_mul_f64 v[92:93], v[24:25], v[144:145]
	v_mul_f64 v[20:21], v[24:25], v[142:143]
	v_fmac_f64_e32 v[92:93], v[22:23], v[142:143]
	v_fma_f64 v[84:85], v[22:23], v[144:145], -v[20:21]
	v_accvgpr_read_b32 v22, a118
	v_mul_f64 v[20:21], v[126:127], v[146:147]
	v_accvgpr_read_b32 v24, a120
	v_accvgpr_read_b32 v25, a121
	v_fma_f64 v[86:87], v[124:125], v[148:149], -v[20:21]
	v_accvgpr_read_b32 v23, a119
	s_waitcnt lgkmcnt(1)
	v_mul_f64 v[20:21], v[24:25], v[154:155]
	v_fma_f64 v[88:89], v[22:23], v[156:157], -v[20:21]
	s_waitcnt lgkmcnt(0)
	v_mul_f64 v[20:21], v[130:131], v[158:159]
	v_fma_f64 v[90:91], v[128:129], v[160:161], -v[20:21]
	v_add_f64 v[20:21], v[0:1], v[106:107]
	v_add_f64 v[20:21], v[20:21], v[112:113]
	v_add_f64 v[20:21], v[20:21], v[162:163]
	v_mul_f64 v[96:97], v[24:25], v[156:157]
	v_add_f64 v[24:25], v[20:21], v[166:167]
	v_add_f64 v[20:21], v[112:113], v[162:163]
	v_fmac_f64_e32 v[96:97], v[22:23], v[154:155]
	v_fma_f64 v[20:21], -0.5, v[20:21], v[0:1]
	v_add_f64 v[22:23], v[68:69], -v[168:169]
	v_fma_f64 v[28:29], s[14:15], v[22:23], v[20:21]
	v_add_f64 v[26:27], v[114:115], -v[164:165]
	v_add_f64 v[30:31], v[106:107], -v[112:113]
	;; [unrolled: 1-line block ×3, first 2 shown]
	v_fmac_f64_e32 v[20:21], s[12:13], v[22:23]
	v_fmac_f64_e32 v[28:29], s[0:1], v[26:27]
	v_add_f64 v[30:31], v[30:31], v[32:33]
	v_fmac_f64_e32 v[20:21], s[16:17], v[26:27]
	v_fmac_f64_e32 v[28:29], s[8:9], v[30:31]
	v_fmac_f64_e32 v[20:21], s[8:9], v[30:31]
	v_add_f64 v[30:31], v[106:107], v[166:167]
	v_fmac_f64_e32 v[0:1], -0.5, v[30:31]
	v_fma_f64 v[32:33], s[12:13], v[26:27], v[0:1]
	v_fmac_f64_e32 v[0:1], s[14:15], v[26:27]
	v_fmac_f64_e32 v[32:33], s[0:1], v[22:23]
	;; [unrolled: 1-line block ×3, first 2 shown]
	v_add_f64 v[22:23], v[2:3], v[68:69]
	v_add_f64 v[22:23], v[22:23], v[114:115]
	;; [unrolled: 1-line block ×3, first 2 shown]
	v_add_f64 v[30:31], v[112:113], -v[106:107]
	v_add_f64 v[34:35], v[162:163], -v[166:167]
	v_add_f64 v[26:27], v[22:23], v[168:169]
	v_add_f64 v[22:23], v[114:115], v[164:165]
	;; [unrolled: 1-line block ×3, first 2 shown]
	v_fma_f64 v[22:23], -0.5, v[22:23], v[2:3]
	v_add_f64 v[36:37], v[106:107], -v[166:167]
	v_fmac_f64_e32 v[32:33], s[8:9], v[30:31]
	v_fmac_f64_e32 v[0:1], s[8:9], v[30:31]
	v_fma_f64 v[30:31], s[12:13], v[36:37], v[22:23]
	v_add_f64 v[38:39], v[112:113], -v[162:163]
	v_add_f64 v[34:35], v[68:69], -v[114:115]
	;; [unrolled: 1-line block ×3, first 2 shown]
	v_fmac_f64_e32 v[22:23], s[14:15], v[36:37]
	v_fmac_f64_e32 v[30:31], s[16:17], v[38:39]
	v_add_f64 v[34:35], v[34:35], v[40:41]
	v_fmac_f64_e32 v[22:23], s[0:1], v[38:39]
	v_fmac_f64_e32 v[30:31], s[8:9], v[34:35]
	;; [unrolled: 1-line block ×3, first 2 shown]
	v_add_f64 v[34:35], v[68:69], v[168:169]
	v_fmac_f64_e32 v[2:3], -0.5, v[34:35]
	v_fma_f64 v[34:35], s[14:15], v[38:39], v[2:3]
	v_fmac_f64_e32 v[2:3], s[12:13], v[38:39]
	v_fmac_f64_e32 v[34:35], s[16:17], v[36:37]
	;; [unrolled: 1-line block ×3, first 2 shown]
	v_add_f64 v[36:37], v[4:5], v[170:171]
	v_add_f64 v[40:41], v[114:115], -v[68:69]
	v_add_f64 v[42:43], v[164:165], -v[168:169]
	v_add_f64 v[36:37], v[36:37], v[172:173]
	v_add_f64 v[40:41], v[40:41], v[42:43]
	v_add_f64 v[36:37], v[36:37], v[176:177]
	v_fmac_f64_e32 v[34:35], s[8:9], v[40:41]
	v_fmac_f64_e32 v[2:3], s[8:9], v[40:41]
	v_add_f64 v[40:41], v[36:37], v[178:179]
	v_add_f64 v[36:37], v[172:173], v[176:177]
	v_fma_f64 v[36:37], -0.5, v[36:37], v[4:5]
	v_add_f64 v[38:39], v[44:45], -v[180:181]
	v_fma_f64 v[52:53], s[14:15], v[38:39], v[36:37]
	v_add_f64 v[42:43], v[174:175], -v[46:47]
	v_add_f64 v[54:55], v[170:171], -v[172:173]
	;; [unrolled: 1-line block ×3, first 2 shown]
	v_fmac_f64_e32 v[36:37], s[12:13], v[38:39]
	v_fmac_f64_e32 v[52:53], s[0:1], v[42:43]
	v_add_f64 v[54:55], v[54:55], v[56:57]
	v_fmac_f64_e32 v[36:37], s[16:17], v[42:43]
	v_fmac_f64_e32 v[52:53], s[8:9], v[54:55]
	;; [unrolled: 1-line block ×3, first 2 shown]
	v_add_f64 v[54:55], v[170:171], v[178:179]
	v_fmac_f64_e32 v[4:5], -0.5, v[54:55]
	v_fma_f64 v[56:57], s[12:13], v[42:43], v[4:5]
	v_fmac_f64_e32 v[4:5], s[14:15], v[42:43]
	v_fmac_f64_e32 v[56:57], s[0:1], v[38:39]
	;; [unrolled: 1-line block ×3, first 2 shown]
	v_add_f64 v[38:39], v[6:7], v[44:45]
	v_add_f64 v[38:39], v[38:39], v[174:175]
	;; [unrolled: 1-line block ×3, first 2 shown]
	v_add_f64 v[54:55], v[172:173], -v[170:171]
	v_add_f64 v[58:59], v[176:177], -v[178:179]
	v_add_f64 v[42:43], v[38:39], v[180:181]
	v_add_f64 v[38:39], v[174:175], v[46:47]
	;; [unrolled: 1-line block ×3, first 2 shown]
	v_fma_f64 v[38:39], -0.5, v[38:39], v[6:7]
	v_add_f64 v[60:61], v[170:171], -v[178:179]
	v_fmac_f64_e32 v[56:57], s[8:9], v[54:55]
	v_fmac_f64_e32 v[4:5], s[8:9], v[54:55]
	v_fma_f64 v[54:55], s[12:13], v[60:61], v[38:39]
	v_add_f64 v[62:63], v[172:173], -v[176:177]
	v_add_f64 v[58:59], v[44:45], -v[174:175]
	;; [unrolled: 1-line block ×3, first 2 shown]
	v_fmac_f64_e32 v[38:39], s[14:15], v[60:61]
	v_fmac_f64_e32 v[54:55], s[16:17], v[62:63]
	v_add_f64 v[58:59], v[58:59], v[64:65]
	v_fmac_f64_e32 v[38:39], s[0:1], v[62:63]
	v_fmac_f64_e32 v[54:55], s[8:9], v[58:59]
	;; [unrolled: 1-line block ×3, first 2 shown]
	v_add_f64 v[58:59], v[44:45], v[180:181]
	v_fmac_f64_e32 v[6:7], -0.5, v[58:59]
	v_fma_f64 v[58:59], s[14:15], v[62:63], v[6:7]
	v_add_f64 v[44:45], v[174:175], -v[44:45]
	v_add_f64 v[46:47], v[46:47], -v[180:181]
	v_fmac_f64_e32 v[6:7], s[12:13], v[62:63]
	v_fmac_f64_e32 v[58:59], s[16:17], v[60:61]
	v_add_f64 v[44:45], v[44:45], v[46:47]
	v_fmac_f64_e32 v[6:7], s[0:1], v[60:61]
	v_fmac_f64_e32 v[58:59], s[8:9], v[44:45]
	;; [unrolled: 1-line block ×3, first 2 shown]
	v_add_f64 v[44:45], v[12:13], v[66:67]
	v_add_f64 v[44:45], v[44:45], v[70:71]
	;; [unrolled: 1-line block ×5, first 2 shown]
	v_fma_f64 v[44:45], -0.5, v[44:45], v[12:13]
	v_add_f64 v[46:47], v[72:73], -v[78:79]
	v_fma_f64 v[64:65], s[14:15], v[46:47], v[44:45]
	v_add_f64 v[62:63], v[74:75], -v[76:77]
	v_add_f64 v[68:69], v[66:67], -v[70:71]
	;; [unrolled: 1-line block ×3, first 2 shown]
	v_fmac_f64_e32 v[44:45], s[12:13], v[46:47]
	v_fmac_f64_e32 v[64:65], s[0:1], v[62:63]
	v_add_f64 v[68:69], v[68:69], v[106:107]
	v_fmac_f64_e32 v[44:45], s[16:17], v[62:63]
	v_fmac_f64_e32 v[64:65], s[8:9], v[68:69]
	;; [unrolled: 1-line block ×3, first 2 shown]
	v_add_f64 v[68:69], v[66:67], v[136:137]
	v_fmac_f64_e32 v[12:13], -0.5, v[68:69]
	v_fma_f64 v[68:69], s[12:13], v[62:63], v[12:13]
	v_fmac_f64_e32 v[12:13], s[14:15], v[62:63]
	v_fmac_f64_e32 v[68:69], s[0:1], v[46:47]
	v_fmac_f64_e32 v[12:13], s[16:17], v[46:47]
	v_add_f64 v[46:47], v[14:15], v[72:73]
	v_add_f64 v[46:47], v[46:47], v[74:75]
	v_add_f64 v[106:107], v[70:71], -v[66:67]
	v_add_f64 v[112:113], v[80:81], -v[136:137]
	v_add_f64 v[46:47], v[46:47], v[76:77]
	v_add_f64 v[106:107], v[106:107], v[112:113]
	;; [unrolled: 1-line block ×4, first 2 shown]
	v_fmac_f64_e32 v[68:69], s[8:9], v[106:107]
	v_fmac_f64_e32 v[12:13], s[8:9], v[106:107]
	v_fma_f64 v[46:47], -0.5, v[46:47], v[14:15]
	v_add_f64 v[106:107], v[66:67], -v[136:137]
	v_fma_f64 v[66:67], s[12:13], v[106:107], v[46:47]
	v_add_f64 v[80:81], v[70:71], -v[80:81]
	v_add_f64 v[70:71], v[72:73], -v[74:75]
	;; [unrolled: 1-line block ×3, first 2 shown]
	v_fmac_f64_e32 v[46:47], s[14:15], v[106:107]
	v_fmac_f64_e32 v[66:67], s[16:17], v[80:81]
	v_add_f64 v[70:71], v[70:71], v[112:113]
	v_fmac_f64_e32 v[46:47], s[0:1], v[80:81]
	v_fmac_f64_e32 v[66:67], s[8:9], v[70:71]
	;; [unrolled: 1-line block ×3, first 2 shown]
	v_add_f64 v[70:71], v[72:73], v[78:79]
	v_fmac_f64_e32 v[14:15], -0.5, v[70:71]
	v_fma_f64 v[70:71], s[14:15], v[80:81], v[14:15]
	v_add_f64 v[72:73], v[74:75], -v[72:73]
	v_add_f64 v[74:75], v[76:77], -v[78:79]
	v_fmac_f64_e32 v[14:15], s[12:13], v[80:81]
	v_fmac_f64_e32 v[70:71], s[16:17], v[106:107]
	v_add_f64 v[72:73], v[72:73], v[74:75]
	v_fmac_f64_e32 v[14:15], s[0:1], v[106:107]
	v_mul_f64 v[50:51], v[122:123], v[152:153]
	v_fmac_f64_e32 v[70:71], s[8:9], v[72:73]
	v_fmac_f64_e32 v[14:15], s[8:9], v[72:73]
	v_add_f64 v[72:73], v[8:9], v[82:83]
	v_fmac_f64_e32 v[50:51], v[120:121], v[150:151]
	v_add_f64 v[72:73], v[72:73], v[48:49]
	v_add_f64 v[72:73], v[72:73], v[50:51]
	;; [unrolled: 1-line block ×4, first 2 shown]
	v_fma_f64 v[72:73], -0.5, v[72:73], v[8:9]
	v_add_f64 v[74:75], v[100:101], -v[104:105]
	v_fma_f64 v[80:81], s[14:15], v[74:75], v[72:73]
	v_add_f64 v[78:79], v[102:103], -v[108:109]
	v_add_f64 v[106:107], v[82:83], -v[48:49]
	;; [unrolled: 1-line block ×3, first 2 shown]
	v_fmac_f64_e32 v[72:73], s[12:13], v[74:75]
	v_fmac_f64_e32 v[80:81], s[0:1], v[78:79]
	v_add_f64 v[106:107], v[106:107], v[112:113]
	v_fmac_f64_e32 v[72:73], s[16:17], v[78:79]
	v_fmac_f64_e32 v[80:81], s[8:9], v[106:107]
	;; [unrolled: 1-line block ×3, first 2 shown]
	v_add_f64 v[106:107], v[82:83], v[110:111]
	v_fmac_f64_e32 v[8:9], -0.5, v[106:107]
	v_fma_f64 v[112:113], s[12:13], v[78:79], v[8:9]
	v_fmac_f64_e32 v[8:9], s[14:15], v[78:79]
	v_fmac_f64_e32 v[112:113], s[0:1], v[74:75]
	;; [unrolled: 1-line block ×3, first 2 shown]
	v_add_f64 v[74:75], v[10:11], v[100:101]
	v_add_f64 v[74:75], v[74:75], v[102:103]
	v_add_f64 v[106:107], v[48:49], -v[82:83]
	v_add_f64 v[114:115], v[50:51], -v[110:111]
	v_add_f64 v[74:75], v[74:75], v[108:109]
	v_add_f64 v[106:107], v[106:107], v[114:115]
	;; [unrolled: 1-line block ×4, first 2 shown]
	v_fmac_f64_e32 v[112:113], s[8:9], v[106:107]
	v_fmac_f64_e32 v[8:9], s[8:9], v[106:107]
	v_fma_f64 v[74:75], -0.5, v[74:75], v[10:11]
	v_add_f64 v[106:107], v[82:83], -v[110:111]
	v_fma_f64 v[82:83], s[12:13], v[106:107], v[74:75]
	v_add_f64 v[48:49], v[48:49], -v[50:51]
	v_add_f64 v[50:51], v[100:101], -v[102:103]
	;; [unrolled: 1-line block ×3, first 2 shown]
	v_fmac_f64_e32 v[74:75], s[14:15], v[106:107]
	v_fmac_f64_e32 v[82:83], s[16:17], v[48:49]
	v_add_f64 v[50:51], v[50:51], v[110:111]
	v_fmac_f64_e32 v[74:75], s[0:1], v[48:49]
	v_fmac_f64_e32 v[82:83], s[8:9], v[50:51]
	;; [unrolled: 1-line block ×3, first 2 shown]
	v_add_f64 v[50:51], v[100:101], v[104:105]
	v_fmac_f64_e32 v[10:11], -0.5, v[50:51]
	v_mul_f64 v[94:95], v[126:127], v[148:149]
	v_fma_f64 v[114:115], s[14:15], v[48:49], v[10:11]
	v_add_f64 v[50:51], v[102:103], -v[100:101]
	v_add_f64 v[100:101], v[108:109], -v[104:105]
	v_fmac_f64_e32 v[10:11], s[12:13], v[48:49]
	v_fmac_f64_e32 v[94:95], v[124:125], v[146:147]
	;; [unrolled: 1-line block ×3, first 2 shown]
	v_add_f64 v[50:51], v[50:51], v[100:101]
	v_fmac_f64_e32 v[10:11], s[0:1], v[106:107]
	v_mul_f64 v[98:99], v[130:131], v[160:161]
	v_fmac_f64_e32 v[114:115], s[8:9], v[50:51]
	v_fmac_f64_e32 v[10:11], s[8:9], v[50:51]
	v_add_f64 v[50:51], v[94:95], v[96:97]
	v_fmac_f64_e32 v[98:99], v[128:129], v[158:159]
	v_fma_f64 v[100:101], -0.5, v[50:51], v[16:17]
	v_add_f64 v[50:51], v[84:85], -v[90:91]
	v_fma_f64 v[104:105], s[14:15], v[50:51], v[100:101]
	v_add_f64 v[102:103], v[86:87], -v[88:89]
	v_add_f64 v[106:107], v[92:93], -v[94:95]
	;; [unrolled: 1-line block ×3, first 2 shown]
	v_fmac_f64_e32 v[100:101], s[12:13], v[50:51]
	v_fmac_f64_e32 v[104:105], s[0:1], v[102:103]
	v_add_f64 v[106:107], v[106:107], v[108:109]
	v_fmac_f64_e32 v[100:101], s[16:17], v[102:103]
	v_fmac_f64_e32 v[104:105], s[8:9], v[106:107]
	;; [unrolled: 1-line block ×3, first 2 shown]
	v_add_f64 v[106:107], v[92:93], v[98:99]
	v_add_f64 v[48:49], v[16:17], v[92:93]
	v_fmac_f64_e32 v[16:17], -0.5, v[106:107]
	v_add_f64 v[48:49], v[48:49], v[94:95]
	v_fma_f64 v[108:109], s[12:13], v[102:103], v[16:17]
	v_add_f64 v[106:107], v[94:95], -v[92:93]
	v_add_f64 v[110:111], v[96:97], -v[98:99]
	v_fmac_f64_e32 v[16:17], s[14:15], v[102:103]
	v_add_f64 v[102:103], v[86:87], v[88:89]
	v_add_f64 v[48:49], v[48:49], v[96:97]
	v_fmac_f64_e32 v[108:109], s[0:1], v[50:51]
	v_add_f64 v[106:107], v[106:107], v[110:111]
	v_fmac_f64_e32 v[16:17], s[16:17], v[50:51]
	v_fma_f64 v[102:103], -0.5, v[102:103], v[18:19]
	v_add_f64 v[92:93], v[92:93], -v[98:99]
	v_add_f64 v[48:49], v[48:49], v[98:99]
	v_fmac_f64_e32 v[108:109], s[8:9], v[106:107]
	v_fmac_f64_e32 v[16:17], s[8:9], v[106:107]
	v_fma_f64 v[106:107], s[12:13], v[92:93], v[102:103]
	v_add_f64 v[94:95], v[94:95], -v[96:97]
	v_add_f64 v[96:97], v[84:85], -v[86:87]
	;; [unrolled: 1-line block ×3, first 2 shown]
	v_fmac_f64_e32 v[102:103], s[14:15], v[92:93]
	v_fmac_f64_e32 v[106:107], s[16:17], v[94:95]
	v_add_f64 v[96:97], v[96:97], v[98:99]
	v_fmac_f64_e32 v[102:103], s[0:1], v[94:95]
	v_fmac_f64_e32 v[106:107], s[8:9], v[96:97]
	;; [unrolled: 1-line block ×3, first 2 shown]
	v_add_f64 v[96:97], v[84:85], v[90:91]
	v_add_f64 v[50:51], v[18:19], v[84:85]
	v_fmac_f64_e32 v[18:19], -0.5, v[96:97]
	v_add_f64 v[50:51], v[50:51], v[86:87]
	v_fma_f64 v[110:111], s[14:15], v[94:95], v[18:19]
	v_add_f64 v[84:85], v[86:87], -v[84:85]
	v_add_f64 v[86:87], v[88:89], -v[90:91]
	v_fmac_f64_e32 v[18:19], s[12:13], v[94:95]
	v_add_f64 v[50:51], v[50:51], v[88:89]
	v_fmac_f64_e32 v[110:111], s[16:17], v[92:93]
	v_add_f64 v[84:85], v[84:85], v[86:87]
	;; [unrolled: 2-line block ×3, first 2 shown]
	v_fmac_f64_e32 v[110:111], s[8:9], v[84:85]
	v_fmac_f64_e32 v[18:19], s[8:9], v[84:85]
	ds_write_b128 v116, v[24:27]
	ds_write_b128 v118, v[28:31] offset:1040
	ds_write_b128 v118, v[32:35] offset:2080
	;; [unrolled: 1-line block ×24, first 2 shown]
	s_waitcnt lgkmcnt(0)
	; wave barrier
	s_waitcnt lgkmcnt(0)
	ds_read_b128 v[0:3], v116
	v_accvgpr_read_b32 v214, a4
	v_mov_b32_e32 v192, s10
	v_mov_b32_e32 v193, s11
	v_mad_u64_u32 v[194:195], s[10:11], s6, v214, 0
	v_mov_b32_e32 v212, v195
	v_accvgpr_read_b32 v13, a9
	v_mad_u64_u32 v[4:5], s[0:1], s7, v214, v[212:213]
	v_accvgpr_read_b32 v12, a8
	v_mov_b32_e32 v195, v4
	ds_read_b128 v[4:7], v116 offset:400
	v_accvgpr_read_b32 v11, a7
	v_accvgpr_read_b32 v10, a6
	s_waitcnt lgkmcnt(1)
	v_mul_f64 v[8:9], v[12:13], v[2:3]
	v_fmac_f64_e32 v[8:9], v[10:11], v[0:1]
	s_mov_b32 s0, 0x7f9b2ce6
	v_mul_f64 v[0:1], v[12:13], v[0:1]
	v_accvgpr_read_b32 v20, a0
	s_mov_b32 s1, 0x3f6934c6
	v_fma_f64 v[0:1], v[10:11], v[2:3], -v[0:1]
	v_mad_u64_u32 v[2:3], s[6:7], s4, v20, 0
	v_mul_f64 v[10:11], v[0:1], s[0:1]
	v_mov_b32_e32 v0, v3
	v_mad_u64_u32 v[0:1], s[6:7], s5, v20, v[0:1]
	v_mov_b32_e32 v3, v0
	v_lshl_add_u64 v[0:1], v[194:195], 4, v[192:193]
	v_mul_f64 v[8:9], v[8:9], s[0:1]
	v_lshl_add_u64 v[12:13], v[2:3], 4, v[0:1]
	global_store_dwordx4 v[12:13], v[8:11], off
	s_mul_i32 s6, s5, 25
	s_mul_hi_u32 s7, s4, 25
	v_accvgpr_read_b32 v8, a38
	v_accvgpr_read_b32 v10, a40
	;; [unrolled: 1-line block ×4, first 2 shown]
	s_waitcnt lgkmcnt(0)
	v_mul_f64 v[2:3], v[10:11], v[6:7]
	v_fmac_f64_e32 v[2:3], v[8:9], v[4:5]
	v_mul_f64 v[4:5], v[10:11], v[4:5]
	v_fma_f64 v[4:5], v[8:9], v[6:7], -v[4:5]
	ds_read_b128 v[6:9], v116 offset:800
	s_add_i32 s7, s7, s6
	s_mul_i32 s6, s4, 25
	s_lshl_b64 s[6:7], s[6:7], 4
	v_accvgpr_read_b32 v19, a13
	v_mul_f64 v[2:3], v[2:3], s[0:1]
	v_mul_f64 v[4:5], v[4:5], s[0:1]
	v_lshl_add_u64 v[14:15], v[12:13], 0, s[6:7]
	v_accvgpr_read_b32 v18, a12
	global_store_dwordx4 v[14:15], v[2:5], off
	ds_read_b128 v[2:5], v116 offset:1200
	v_accvgpr_read_b32 v17, a11
	v_accvgpr_read_b32 v16, a10
	s_waitcnt lgkmcnt(1)
	v_mul_f64 v[10:11], v[18:19], v[8:9]
	v_fmac_f64_e32 v[10:11], v[16:17], v[6:7]
	v_mul_f64 v[6:7], v[18:19], v[6:7]
	v_fma_f64 v[6:7], v[16:17], v[8:9], -v[6:7]
	v_mul_f64 v[10:11], v[10:11], s[0:1]
	v_mul_f64 v[12:13], v[6:7], s[0:1]
	v_lshl_add_u64 v[14:15], v[14:15], 0, s[6:7]
	global_store_dwordx4 v[14:15], v[10:13], off
	v_accvgpr_read_b32 v8, a34
	v_accvgpr_read_b32 v9, a35
	;; [unrolled: 1-line block ×4, first 2 shown]
	s_waitcnt lgkmcnt(0)
	v_mul_f64 v[6:7], v[10:11], v[4:5]
	v_fmac_f64_e32 v[6:7], v[8:9], v[2:3]
	v_mul_f64 v[2:3], v[10:11], v[2:3]
	v_fma_f64 v[8:9], v[8:9], v[4:5], -v[2:3]
	ds_read_b128 v[2:5], v116 offset:1600
	v_accvgpr_read_b32 v19, a17
	v_mul_f64 v[6:7], v[6:7], s[0:1]
	v_mul_f64 v[8:9], v[8:9], s[0:1]
	v_lshl_add_u64 v[14:15], v[14:15], 0, s[6:7]
	v_accvgpr_read_b32 v18, a16
	global_store_dwordx4 v[14:15], v[6:9], off
	ds_read_b128 v[6:9], v116 offset:2000
	v_accvgpr_read_b32 v17, a15
	v_accvgpr_read_b32 v16, a14
	s_waitcnt lgkmcnt(1)
	v_mul_f64 v[10:11], v[18:19], v[4:5]
	v_fmac_f64_e32 v[10:11], v[16:17], v[2:3]
	v_mul_f64 v[2:3], v[18:19], v[2:3]
	v_fma_f64 v[2:3], v[16:17], v[4:5], -v[2:3]
	v_mul_f64 v[10:11], v[10:11], s[0:1]
	v_mul_f64 v[12:13], v[2:3], s[0:1]
	v_lshl_add_u64 v[14:15], v[14:15], 0, s[6:7]
	global_store_dwordx4 v[14:15], v[10:13], off
	v_accvgpr_read_b32 v16, a18
	v_lshl_add_u64 v[14:15], v[14:15], 0, s[6:7]
	v_accvgpr_read_b32 v10, a26
	v_accvgpr_read_b32 v12, a28
	;; [unrolled: 1-line block ×4, first 2 shown]
	s_waitcnt lgkmcnt(0)
	v_mul_f64 v[2:3], v[12:13], v[8:9]
	v_mul_f64 v[4:5], v[12:13], v[6:7]
	v_fmac_f64_e32 v[2:3], v[10:11], v[6:7]
	v_fma_f64 v[4:5], v[10:11], v[8:9], -v[4:5]
	ds_read_b128 v[6:9], v116 offset:2400
	v_mul_f64 v[2:3], v[2:3], s[0:1]
	v_mul_f64 v[4:5], v[4:5], s[0:1]
	v_accvgpr_read_b32 v18, a20
	v_accvgpr_read_b32 v19, a21
	global_store_dwordx4 v[14:15], v[2:5], off
	ds_read_b128 v[2:5], v116 offset:2800
	v_accvgpr_read_b32 v17, a19
	s_waitcnt lgkmcnt(1)
	v_mul_f64 v[10:11], v[18:19], v[8:9]
	v_fmac_f64_e32 v[10:11], v[16:17], v[6:7]
	v_mul_f64 v[6:7], v[18:19], v[6:7]
	v_fma_f64 v[6:7], v[16:17], v[8:9], -v[6:7]
	v_mul_f64 v[10:11], v[10:11], s[0:1]
	v_mul_f64 v[12:13], v[6:7], s[0:1]
	v_lshl_add_u64 v[14:15], v[14:15], 0, s[6:7]
	global_store_dwordx4 v[14:15], v[10:13], off
	v_accvgpr_read_b32 v8, a30
	v_accvgpr_read_b32 v9, a31
	;; [unrolled: 1-line block ×4, first 2 shown]
	s_waitcnt lgkmcnt(0)
	v_mul_f64 v[6:7], v[10:11], v[4:5]
	v_fmac_f64_e32 v[6:7], v[8:9], v[2:3]
	v_mul_f64 v[2:3], v[10:11], v[2:3]
	v_fma_f64 v[8:9], v[8:9], v[4:5], -v[2:3]
	ds_read_b128 v[2:5], v116 offset:3200
	v_accvgpr_read_b32 v16, a22
	v_mul_f64 v[6:7], v[6:7], s[0:1]
	v_mul_f64 v[8:9], v[8:9], s[0:1]
	v_lshl_add_u64 v[14:15], v[14:15], 0, s[6:7]
	v_accvgpr_read_b32 v18, a24
	v_accvgpr_read_b32 v19, a25
	global_store_dwordx4 v[14:15], v[6:9], off
	ds_read_b128 v[6:9], v116 offset:3600
	v_accvgpr_read_b32 v17, a23
	s_waitcnt lgkmcnt(1)
	v_mul_f64 v[10:11], v[18:19], v[4:5]
	v_fmac_f64_e32 v[10:11], v[16:17], v[2:3]
	v_mul_f64 v[2:3], v[18:19], v[2:3]
	v_fma_f64 v[2:3], v[16:17], v[4:5], -v[2:3]
	v_mul_f64 v[10:11], v[10:11], s[0:1]
	v_mul_f64 v[12:13], v[2:3], s[0:1]
	v_lshl_add_u64 v[14:15], v[14:15], 0, s[6:7]
	global_store_dwordx4 v[14:15], v[10:13], off
	v_accvgpr_read_b32 v16, a50
	v_lshl_add_u64 v[14:15], v[14:15], 0, s[6:7]
	v_accvgpr_read_b32 v10, a54
	v_accvgpr_read_b32 v12, a56
	;; [unrolled: 1-line block ×4, first 2 shown]
	s_waitcnt lgkmcnt(0)
	v_mul_f64 v[2:3], v[12:13], v[8:9]
	v_mul_f64 v[4:5], v[12:13], v[6:7]
	v_fmac_f64_e32 v[2:3], v[10:11], v[6:7]
	v_fma_f64 v[4:5], v[10:11], v[8:9], -v[4:5]
	ds_read_b128 v[6:9], v116 offset:4000
	v_mul_f64 v[2:3], v[2:3], s[0:1]
	v_mul_f64 v[4:5], v[4:5], s[0:1]
	v_accvgpr_read_b32 v18, a52
	v_accvgpr_read_b32 v19, a53
	global_store_dwordx4 v[14:15], v[2:5], off
	ds_read_b128 v[2:5], v116 offset:4400
	v_accvgpr_read_b32 v17, a51
	s_waitcnt lgkmcnt(1)
	v_mul_f64 v[10:11], v[18:19], v[8:9]
	v_fmac_f64_e32 v[10:11], v[16:17], v[6:7]
	v_mul_f64 v[6:7], v[18:19], v[6:7]
	v_fma_f64 v[6:7], v[16:17], v[8:9], -v[6:7]
	v_mul_f64 v[10:11], v[10:11], s[0:1]
	v_mul_f64 v[12:13], v[6:7], s[0:1]
	v_lshl_add_u64 v[14:15], v[14:15], 0, s[6:7]
	global_store_dwordx4 v[14:15], v[10:13], off
	v_accvgpr_read_b32 v8, a42
	v_accvgpr_read_b32 v9, a43
	;; [unrolled: 1-line block ×4, first 2 shown]
	s_waitcnt lgkmcnt(0)
	v_mul_f64 v[6:7], v[10:11], v[4:5]
	v_fmac_f64_e32 v[6:7], v[8:9], v[2:3]
	v_mul_f64 v[2:3], v[10:11], v[2:3]
	ds_read_b128 v[10:13], v116 offset:4800
	v_fma_f64 v[2:3], v[8:9], v[4:5], -v[2:3]
	v_mul_f64 v[8:9], v[2:3], s[0:1]
	v_lshl_add_u64 v[2:3], v[14:15], 0, s[6:7]
	v_accvgpr_read_b32 v14, a46
	v_mul_f64 v[6:7], v[6:7], s[0:1]
	v_accvgpr_read_b32 v16, a48
	v_accvgpr_read_b32 v17, a49
	global_store_dwordx4 v[2:3], v[6:9], off
	v_accvgpr_read_b32 v15, a47
	s_waitcnt lgkmcnt(0)
	v_mul_f64 v[4:5], v[16:17], v[12:13]
	v_mul_f64 v[6:7], v[16:17], v[10:11]
	v_fmac_f64_e32 v[4:5], v[14:15], v[10:11]
	v_fma_f64 v[6:7], v[14:15], v[12:13], -v[6:7]
	v_mul_f64 v[4:5], v[4:5], s[0:1]
	v_mul_f64 v[6:7], v[6:7], s[0:1]
	v_lshl_add_u64 v[2:3], v[2:3], 0, s[6:7]
	global_store_dwordx4 v[2:3], v[4:7], off
	s_and_b64 exec, exec, vcc
	s_cbranch_execz .LBB0_15
; %bb.14:
	v_accvgpr_read_b32 v19, a3
	v_accvgpr_read_b32 v18, a2
	global_load_dwordx4 v[4:7], v[18:19], off offset:208
	ds_read_b128 v[8:11], v118 offset:208
	v_mov_b32_e32 v12, 0xffffee10
	s_mul_i32 s10, s5, 0xffffee10
	v_mad_u64_u32 v[14:15], s[8:9], s4, v12, v[2:3]
	s_sub_i32 s8, s10, s4
	s_nop 0
	v_add_u32_e32 v15, s8, v15
	s_movk_i32 s8, 0x1000
	v_or_b32_e32 v21, 0x120, v20
	s_waitcnt vmcnt(0) lgkmcnt(0)
	v_mul_f64 v[2:3], v[10:11], v[6:7]
	v_mul_f64 v[6:7], v[8:9], v[6:7]
	v_fmac_f64_e32 v[2:3], v[8:9], v[4:5]
	v_fma_f64 v[4:5], v[4:5], v[10:11], -v[6:7]
	v_mul_f64 v[2:3], v[2:3], s[0:1]
	v_mul_f64 v[4:5], v[4:5], s[0:1]
	global_store_dwordx4 v[14:15], v[2:5], off
	global_load_dwordx4 v[2:5], v[18:19], off offset:608
	ds_read_b128 v[6:9], v116 offset:608
	ds_read_b128 v[10:13], v116 offset:1008
	v_lshl_add_u64 v[14:15], v[14:15], 0, s[6:7]
	s_waitcnt vmcnt(0) lgkmcnt(1)
	v_mul_f64 v[16:17], v[8:9], v[4:5]
	v_mul_f64 v[4:5], v[6:7], v[4:5]
	v_fmac_f64_e32 v[16:17], v[6:7], v[2:3]
	v_fma_f64 v[4:5], v[2:3], v[8:9], -v[4:5]
	v_mul_f64 v[2:3], v[16:17], s[0:1]
	v_mul_f64 v[4:5], v[4:5], s[0:1]
	global_store_dwordx4 v[14:15], v[2:5], off
	global_load_dwordx4 v[2:5], v[18:19], off offset:1008
	v_lshl_add_u64 v[14:15], v[14:15], 0, s[6:7]
	s_waitcnt vmcnt(0) lgkmcnt(0)
	v_mul_f64 v[6:7], v[12:13], v[4:5]
	v_mul_f64 v[4:5], v[10:11], v[4:5]
	v_fmac_f64_e32 v[6:7], v[10:11], v[2:3]
	v_fma_f64 v[4:5], v[2:3], v[12:13], -v[4:5]
	v_mul_f64 v[2:3], v[6:7], s[0:1]
	v_mul_f64 v[4:5], v[4:5], s[0:1]
	global_store_dwordx4 v[14:15], v[2:5], off
	global_load_dwordx4 v[2:5], v[18:19], off offset:1408
	ds_read_b128 v[6:9], v116 offset:1408
	ds_read_b128 v[10:13], v116 offset:1808
	v_lshl_add_u64 v[14:15], v[14:15], 0, s[6:7]
	s_waitcnt vmcnt(0) lgkmcnt(1)
	v_mul_f64 v[16:17], v[8:9], v[4:5]
	v_mul_f64 v[4:5], v[6:7], v[4:5]
	v_fmac_f64_e32 v[16:17], v[6:7], v[2:3]
	v_fma_f64 v[4:5], v[2:3], v[8:9], -v[4:5]
	v_mul_f64 v[2:3], v[16:17], s[0:1]
	v_mul_f64 v[4:5], v[4:5], s[0:1]
	global_store_dwordx4 v[14:15], v[2:5], off
	global_load_dwordx4 v[2:5], v[18:19], off offset:1808
	v_lshl_add_u64 v[14:15], v[14:15], 0, s[6:7]
	;; [unrolled: 22-line block ×4, first 2 shown]
	v_add_co_u32_e32 v16, vcc, s8, v18
	s_waitcnt vmcnt(0) lgkmcnt(0)
	v_mul_f64 v[6:7], v[12:13], v[4:5]
	v_mul_f64 v[4:5], v[10:11], v[4:5]
	v_fmac_f64_e32 v[6:7], v[10:11], v[2:3]
	v_fma_f64 v[4:5], v[2:3], v[12:13], -v[4:5]
	v_mul_f64 v[2:3], v[6:7], s[0:1]
	v_mul_f64 v[4:5], v[4:5], s[0:1]
	global_store_dwordx4 v[14:15], v[2:5], off
	global_load_dwordx4 v[2:5], v[18:19], off offset:3808
	ds_read_b128 v[6:9], v116 offset:3808
	ds_read_b128 v[10:13], v116 offset:4208
	v_addc_co_u32_e32 v17, vcc, 0, v19, vcc
	v_lshl_add_u64 v[14:15], v[14:15], 0, s[6:7]
	s_waitcnt vmcnt(0) lgkmcnt(1)
	v_mul_f64 v[18:19], v[8:9], v[4:5]
	v_mul_f64 v[4:5], v[6:7], v[4:5]
	v_fmac_f64_e32 v[18:19], v[6:7], v[2:3]
	v_fma_f64 v[4:5], v[2:3], v[8:9], -v[4:5]
	v_mul_f64 v[2:3], v[18:19], s[0:1]
	v_mul_f64 v[4:5], v[4:5], s[0:1]
	global_store_dwordx4 v[14:15], v[2:5], off
	global_load_dwordx4 v[2:5], v[16:17], off offset:112
	v_lshl_add_u64 v[14:15], v[14:15], 0, s[6:7]
	v_lshlrev_b32_e32 v8, 4, v21
	s_waitcnt vmcnt(0) lgkmcnt(0)
	v_mul_f64 v[6:7], v[12:13], v[4:5]
	v_mul_f64 v[4:5], v[10:11], v[4:5]
	v_fmac_f64_e32 v[6:7], v[10:11], v[2:3]
	v_fma_f64 v[4:5], v[2:3], v[12:13], -v[4:5]
	v_mul_f64 v[2:3], v[6:7], s[0:1]
	v_mul_f64 v[4:5], v[4:5], s[0:1]
	global_store_dwordx4 v[14:15], v[2:5], off
	global_load_dwordx4 v[2:5], v8, s[2:3]
	ds_read_b128 v[6:9], v116 offset:4608
	ds_read_b128 v[10:13], v116 offset:5008
	v_mad_u64_u32 v[18:19], s[2:3], s4, v21, 0
	v_mov_b32_e32 v20, v19
	v_mad_u64_u32 v[20:21], s[2:3], s5, v21, v[20:21]
	v_mov_b32_e32 v19, v20
	v_lshl_add_u64 v[18:19], v[18:19], 4, v[0:1]
	s_mulk_i32 s5, 0x320
	s_waitcnt vmcnt(0) lgkmcnt(1)
	v_mul_f64 v[0:1], v[8:9], v[4:5]
	v_mul_f64 v[4:5], v[6:7], v[4:5]
	v_fmac_f64_e32 v[0:1], v[6:7], v[2:3]
	v_fma_f64 v[2:3], v[2:3], v[8:9], -v[4:5]
	v_mul_f64 v[0:1], v[0:1], s[0:1]
	v_mul_f64 v[2:3], v[2:3], s[0:1]
	global_store_dwordx4 v[18:19], v[0:3], off
	global_load_dwordx4 v[0:3], v[16:17], off offset:912
	v_mov_b32_e32 v4, 0x320
	v_mad_u64_u32 v[4:5], s[2:3], s4, v4, v[14:15]
	v_add_u32_e32 v5, s5, v5
	s_waitcnt vmcnt(0) lgkmcnt(0)
	v_mul_f64 v[6:7], v[12:13], v[2:3]
	v_mul_f64 v[2:3], v[10:11], v[2:3]
	v_fmac_f64_e32 v[6:7], v[10:11], v[0:1]
	v_fma_f64 v[2:3], v[0:1], v[12:13], -v[2:3]
	v_mul_f64 v[0:1], v[6:7], s[0:1]
	v_mul_f64 v[2:3], v[2:3], s[0:1]
	global_store_dwordx4 v[4:5], v[0:3], off
.LBB0_15:
	s_endpgm
	.section	.rodata,"a",@progbits
	.p2align	6, 0x0
	.amdhsa_kernel bluestein_single_fwd_len325_dim1_dp_op_CI_CI
		.amdhsa_group_segment_fixed_size 20800
		.amdhsa_private_segment_fixed_size 0
		.amdhsa_kernarg_size 104
		.amdhsa_user_sgpr_count 2
		.amdhsa_user_sgpr_dispatch_ptr 0
		.amdhsa_user_sgpr_queue_ptr 0
		.amdhsa_user_sgpr_kernarg_segment_ptr 1
		.amdhsa_user_sgpr_dispatch_id 0
		.amdhsa_user_sgpr_kernarg_preload_length 0
		.amdhsa_user_sgpr_kernarg_preload_offset 0
		.amdhsa_user_sgpr_private_segment_size 0
		.amdhsa_uses_dynamic_stack 0
		.amdhsa_enable_private_segment 0
		.amdhsa_system_sgpr_workgroup_id_x 1
		.amdhsa_system_sgpr_workgroup_id_y 0
		.amdhsa_system_sgpr_workgroup_id_z 0
		.amdhsa_system_sgpr_workgroup_info 0
		.amdhsa_system_vgpr_workitem_id 0
		.amdhsa_next_free_vgpr 387
		.amdhsa_next_free_sgpr 52
		.amdhsa_accum_offset 256
		.amdhsa_reserve_vcc 1
		.amdhsa_float_round_mode_32 0
		.amdhsa_float_round_mode_16_64 0
		.amdhsa_float_denorm_mode_32 3
		.amdhsa_float_denorm_mode_16_64 3
		.amdhsa_dx10_clamp 1
		.amdhsa_ieee_mode 1
		.amdhsa_fp16_overflow 0
		.amdhsa_tg_split 0
		.amdhsa_exception_fp_ieee_invalid_op 0
		.amdhsa_exception_fp_denorm_src 0
		.amdhsa_exception_fp_ieee_div_zero 0
		.amdhsa_exception_fp_ieee_overflow 0
		.amdhsa_exception_fp_ieee_underflow 0
		.amdhsa_exception_fp_ieee_inexact 0
		.amdhsa_exception_int_div_zero 0
	.end_amdhsa_kernel
	.text
.Lfunc_end0:
	.size	bluestein_single_fwd_len325_dim1_dp_op_CI_CI, .Lfunc_end0-bluestein_single_fwd_len325_dim1_dp_op_CI_CI
                                        ; -- End function
	.section	.AMDGPU.csdata,"",@progbits
; Kernel info:
; codeLenInByte = 34116
; NumSgprs: 58
; NumVgprs: 256
; NumAgprs: 131
; TotalNumVgprs: 387
; ScratchSize: 0
; MemoryBound: 0
; FloatMode: 240
; IeeeMode: 1
; LDSByteSize: 20800 bytes/workgroup (compile time only)
; SGPRBlocks: 7
; VGPRBlocks: 48
; NumSGPRsForWavesPerEU: 58
; NumVGPRsForWavesPerEU: 387
; AccumOffset: 256
; Occupancy: 1
; WaveLimiterHint : 1
; COMPUTE_PGM_RSRC2:SCRATCH_EN: 0
; COMPUTE_PGM_RSRC2:USER_SGPR: 2
; COMPUTE_PGM_RSRC2:TRAP_HANDLER: 0
; COMPUTE_PGM_RSRC2:TGID_X_EN: 1
; COMPUTE_PGM_RSRC2:TGID_Y_EN: 0
; COMPUTE_PGM_RSRC2:TGID_Z_EN: 0
; COMPUTE_PGM_RSRC2:TIDIG_COMP_CNT: 0
; COMPUTE_PGM_RSRC3_GFX90A:ACCUM_OFFSET: 63
; COMPUTE_PGM_RSRC3_GFX90A:TG_SPLIT: 0
	.text
	.p2alignl 6, 3212836864
	.fill 256, 4, 3212836864
	.type	__hip_cuid_5f0565f4ee9cc0f,@object ; @__hip_cuid_5f0565f4ee9cc0f
	.section	.bss,"aw",@nobits
	.globl	__hip_cuid_5f0565f4ee9cc0f
__hip_cuid_5f0565f4ee9cc0f:
	.byte	0                               ; 0x0
	.size	__hip_cuid_5f0565f4ee9cc0f, 1

	.ident	"AMD clang version 19.0.0git (https://github.com/RadeonOpenCompute/llvm-project roc-6.4.0 25133 c7fe45cf4b819c5991fe208aaa96edf142730f1d)"
	.section	".note.GNU-stack","",@progbits
	.addrsig
	.addrsig_sym __hip_cuid_5f0565f4ee9cc0f
	.amdgpu_metadata
---
amdhsa.kernels:
  - .agpr_count:     131
    .args:
      - .actual_access:  read_only
        .address_space:  global
        .offset:         0
        .size:           8
        .value_kind:     global_buffer
      - .actual_access:  read_only
        .address_space:  global
        .offset:         8
        .size:           8
        .value_kind:     global_buffer
      - .actual_access:  read_only
        .address_space:  global
        .offset:         16
        .size:           8
        .value_kind:     global_buffer
      - .actual_access:  read_only
        .address_space:  global
        .offset:         24
        .size:           8
        .value_kind:     global_buffer
      - .actual_access:  read_only
        .address_space:  global
        .offset:         32
        .size:           8
        .value_kind:     global_buffer
      - .offset:         40
        .size:           8
        .value_kind:     by_value
      - .address_space:  global
        .offset:         48
        .size:           8
        .value_kind:     global_buffer
      - .address_space:  global
        .offset:         56
        .size:           8
        .value_kind:     global_buffer
      - .address_space:  global
        .offset:         64
        .size:           8
        .value_kind:     global_buffer
      - .address_space:  global
        .offset:         72
        .size:           8
        .value_kind:     global_buffer
      - .offset:         80
        .size:           4
        .value_kind:     by_value
      - .address_space:  global
        .offset:         88
        .size:           8
        .value_kind:     global_buffer
      - .address_space:  global
        .offset:         96
        .size:           8
        .value_kind:     global_buffer
    .group_segment_fixed_size: 20800
    .kernarg_segment_align: 8
    .kernarg_segment_size: 104
    .language:       OpenCL C
    .language_version:
      - 2
      - 0
    .max_flat_workgroup_size: 52
    .name:           bluestein_single_fwd_len325_dim1_dp_op_CI_CI
    .private_segment_fixed_size: 0
    .sgpr_count:     58
    .sgpr_spill_count: 0
    .symbol:         bluestein_single_fwd_len325_dim1_dp_op_CI_CI.kd
    .uniform_work_group_size: 1
    .uses_dynamic_stack: false
    .vgpr_count:     387
    .vgpr_spill_count: 0
    .wavefront_size: 64
amdhsa.target:   amdgcn-amd-amdhsa--gfx950
amdhsa.version:
  - 1
  - 2
...

	.end_amdgpu_metadata
